;; amdgpu-corpus repo=ROCm/rocFFT kind=compiled arch=gfx1201 opt=O3
	.text
	.amdgcn_target "amdgcn-amd-amdhsa--gfx1201"
	.amdhsa_code_object_version 6
	.protected	bluestein_single_back_len630_dim1_dp_op_CI_CI ; -- Begin function bluestein_single_back_len630_dim1_dp_op_CI_CI
	.globl	bluestein_single_back_len630_dim1_dp_op_CI_CI
	.p2align	8
	.type	bluestein_single_back_len630_dim1_dp_op_CI_CI,@function
bluestein_single_back_len630_dim1_dp_op_CI_CI: ; @bluestein_single_back_len630_dim1_dp_op_CI_CI
; %bb.0:
	s_load_b128 s[8:11], s[0:1], 0x28
	v_mul_u32_u24_e32 v1, 0x411, v0
	s_mov_b32 s2, exec_lo
	v_mov_b32_e32 v3, 0
	s_delay_alu instid0(VALU_DEP_2) | instskip(NEXT) | instid1(VALU_DEP_1)
	v_lshrrev_b32_e32 v1, 16, v1
	v_add_nc_u32_e32 v2, ttmp9, v1
	s_wait_kmcnt 0x0
	s_delay_alu instid0(VALU_DEP_1)
	v_cmpx_gt_u64_e64 s[8:9], v[2:3]
	s_cbranch_execz .LBB0_31
; %bb.1:
	s_clause 0x1
	s_load_b128 s[4:7], s[0:1], 0x18
	s_load_b64 s[16:17], s[0:1], 0x0
	v_mul_lo_u16 v1, v1, 63
	s_movk_i32 s2, 0xfe9b
	s_mov_b32 s3, -1
	v_mov_b32_e32 v3, v2
	s_delay_alu instid0(VALU_DEP_2)
	v_sub_nc_u16 v110, v0, v1
	scratch_store_b64 off, v[3:4], off      ; 8-byte Folded Spill
	v_and_b32_e32 v228, 0xffff, v110
	s_wait_kmcnt 0x0
	s_load_b128 s[12:15], s[4:5], 0x0
	s_wait_kmcnt 0x0
	v_mad_co_u64_u32 v[8:9], null, s14, v2, 0
	v_mad_co_u64_u32 v[20:21], null, s12, v228, 0
	s_mul_u64 s[4:5], s[12:13], 0xd2
	s_mul_u64 s[2:3], s[12:13], s[2:3]
	s_delay_alu instid0(SALU_CYCLE_1) | instskip(NEXT) | instid1(VALU_DEP_1)
	s_lshl_b64 s[2:3], s[2:3], 4
	v_dual_mov_b32 v0, v9 :: v_dual_mov_b32 v1, v21
	v_lshlrev_b32_e32 v227, 4, v228
	s_delay_alu instid0(VALU_DEP_2) | instskip(NEXT) | instid1(VALU_DEP_2)
	v_mad_co_u64_u32 v[2:3], null, s15, v2, v[0:1]
	v_add_co_u32 v254, s12, s16, v227
	s_wait_alu 0xf1ff
	v_add_co_ci_u32_e64 v255, null, s17, 0, s12
	s_delay_alu instid0(VALU_DEP_3)
	v_mad_co_u64_u32 v[10:11], null, s13, v228, v[1:2]
	v_mov_b32_e32 v9, v2
	s_clause 0x1
	global_load_b128 v[0:3], v227, s[16:17]
	global_load_b128 v[4:7], v227, s[16:17] offset:1008
	v_lshlrev_b64_e32 v[22:23], 4, v[8:9]
	v_mov_b32_e32 v21, v10
	s_clause 0x2
	global_load_b128 v[8:11], v227, s[16:17] offset:4368
	global_load_b128 v[12:15], v227, s[16:17] offset:6720
	global_load_b128 v[16:19], v227, s[16:17] offset:7728
	v_add_co_u32 v22, vcc_lo, s10, v22
	v_lshlrev_b64_e32 v[20:21], 4, v[20:21]
	v_add_co_ci_u32_e32 v23, vcc_lo, s11, v23, vcc_lo
	s_lshl_b64 s[10:11], s[4:5], 4
	s_delay_alu instid0(VALU_DEP_2) | instskip(SKIP_1) | instid1(VALU_DEP_2)
	v_add_co_u32 v28, vcc_lo, v22, v20
	s_wait_alu 0xfffd
	v_add_co_ci_u32_e32 v29, vcc_lo, v23, v21, vcc_lo
	s_clause 0x1
	global_load_b128 v[20:23], v227, s[16:17] offset:3360
	global_load_b128 v[24:27], v227, s[16:17] offset:2016
	s_wait_alu 0xfffe
	v_add_co_u32 v30, vcc_lo, v28, s10
	s_wait_alu 0xfffd
	v_add_co_ci_u32_e32 v31, vcc_lo, s11, v29, vcc_lo
	s_clause 0x1
	global_load_b128 v[38:41], v[28:29], off
	global_load_b128 v[42:45], v[30:31], off
	v_add_co_u32 v32, vcc_lo, v30, s10
	s_wait_alu 0xfffd
	v_add_co_ci_u32_e32 v33, vcc_lo, s11, v31, vcc_lo
	s_delay_alu instid0(VALU_DEP_2) | instskip(SKIP_1) | instid1(VALU_DEP_2)
	v_add_co_u32 v34, vcc_lo, v32, s2
	s_wait_alu 0xfffd
	v_add_co_ci_u32_e32 v35, vcc_lo, s3, v33, vcc_lo
	s_clause 0x1
	global_load_b128 v[46:49], v[32:33], off
	global_load_b128 v[50:53], v[34:35], off
	v_add_co_u32 v36, vcc_lo, v34, s10
	s_wait_alu 0xfffd
	v_add_co_ci_u32_e32 v37, vcc_lo, s11, v35, vcc_lo
	s_delay_alu instid0(VALU_DEP_2) | instskip(SKIP_1) | instid1(VALU_DEP_2)
	v_add_co_u32 v28, vcc_lo, v36, s10
	s_wait_alu 0xfffd
	v_add_co_ci_u32_e32 v29, vcc_lo, s11, v37, vcc_lo
	global_load_b128 v[54:57], v[36:37], off
	v_add_co_u32 v30, vcc_lo, v28, s2
	s_wait_alu 0xfffd
	v_add_co_ci_u32_e32 v31, vcc_lo, s3, v29, vcc_lo
	global_load_b128 v[58:61], v[28:29], off
	v_add_co_u32 v32, vcc_lo, v30, s10
	s_wait_alu 0xfffd
	v_add_co_ci_u32_e32 v33, vcc_lo, s11, v31, vcc_lo
	s_delay_alu instid0(VALU_DEP_2) | instskip(SKIP_1) | instid1(VALU_DEP_2)
	v_add_co_u32 v36, vcc_lo, v32, s10
	s_wait_alu 0xfffd
	v_add_co_ci_u32_e32 v37, vcc_lo, s11, v33, vcc_lo
	global_load_b128 v[62:65], v[30:31], off
	global_load_b128 v[28:31], v227, s[16:17] offset:5376
	global_load_b128 v[66:69], v[32:33], off
	global_load_b128 v[32:35], v227, s[16:17] offset:8736
	global_load_b128 v[70:73], v[36:37], off
	s_load_b64 s[8:9], s[0:1], 0x38
	s_load_b128 s[4:7], s[6:7], 0x0
	v_cmp_gt_u16_e32 vcc_lo, 21, v110
	s_wait_loadcnt 0xa
	v_mul_f64_e32 v[74:75], v[40:41], v[2:3]
	v_mul_f64_e32 v[76:77], v[38:39], v[2:3]
	s_wait_loadcnt 0x9
	v_mul_f64_e32 v[78:79], v[44:45], v[22:23]
	v_mul_f64_e32 v[80:81], v[42:43], v[22:23]
	s_wait_loadcnt 0x8
	v_mul_f64_e32 v[82:83], v[48:49], v[14:15]
	s_wait_loadcnt 0x7
	v_mul_f64_e32 v[86:87], v[52:53], v[6:7]
	v_mul_f64_e32 v[88:89], v[50:51], v[6:7]
	;; [unrolled: 1-line block ×3, first 2 shown]
	s_wait_loadcnt 0x6
	v_mul_f64_e32 v[90:91], v[56:57], v[10:11]
	v_mul_f64_e32 v[92:93], v[54:55], v[10:11]
	s_wait_loadcnt 0x5
	v_mul_f64_e32 v[94:95], v[60:61], v[18:19]
	v_mul_f64_e32 v[96:97], v[58:59], v[18:19]
	;; [unrolled: 3-line block ×5, first 2 shown]
	v_fma_f64 v[38:39], v[38:39], v[0:1], v[74:75]
	v_fma_f64 v[40:41], v[40:41], v[0:1], -v[76:77]
	v_fma_f64 v[42:43], v[42:43], v[20:21], v[78:79]
	v_fma_f64 v[44:45], v[44:45], v[20:21], -v[80:81]
	v_fma_f64 v[46:47], v[46:47], v[12:13], v[82:83]
	v_fma_f64 v[50:51], v[50:51], v[4:5], v[86:87]
	v_fma_f64 v[52:53], v[52:53], v[4:5], -v[88:89]
	v_fma_f64 v[48:49], v[48:49], v[12:13], -v[84:85]
	v_fma_f64 v[54:55], v[54:55], v[8:9], v[90:91]
	v_fma_f64 v[56:57], v[56:57], v[8:9], -v[92:93]
	v_fma_f64 v[58:59], v[58:59], v[16:17], v[94:95]
	v_fma_f64 v[60:61], v[60:61], v[16:17], -v[96:97]
	ds_store_b128 v227, v[38:41]
	ds_store_b128 v227, v[50:53] offset:1008
	ds_store_b128 v227, v[46:49] offset:6720
	;; [unrolled: 1-line block ×3, first 2 shown]
	v_fma_f64 v[62:63], v[62:63], v[24:25], v[98:99]
	v_fma_f64 v[64:65], v[64:65], v[24:25], -v[100:101]
	v_fma_f64 v[66:67], v[66:67], v[28:29], v[102:103]
	v_fma_f64 v[68:69], v[68:69], v[28:29], -v[104:105]
	;; [unrolled: 2-line block ×3, first 2 shown]
	ds_store_b128 v227, v[42:45] offset:3360
	ds_store_b128 v227, v[62:65] offset:2016
	;; [unrolled: 1-line block ×5, first 2 shown]
	s_and_saveexec_b32 s12, vcc_lo
	s_cbranch_execz .LBB0_3
; %bb.2:
	v_add_co_u32 v36, s2, v36, s2
	s_wait_alu 0xf1ff
	v_add_co_ci_u32_e64 v37, s2, s3, v37, s2
	s_delay_alu instid0(VALU_DEP_2) | instskip(SKIP_1) | instid1(VALU_DEP_2)
	v_add_co_u32 v44, s2, v36, s10
	s_wait_alu 0xf1ff
	v_add_co_ci_u32_e64 v45, s2, s11, v37, s2
	global_load_b128 v[36:39], v[36:37], off
	v_add_co_u32 v56, s2, v44, s10
	s_wait_alu 0xf1ff
	v_add_co_ci_u32_e64 v57, s2, s11, v45, s2
	global_load_b128 v[40:43], v[254:255], off offset:3024
	global_load_b128 v[44:47], v[44:45], off
	s_clause 0x1
	global_load_b128 v[48:51], v[254:255], off offset:6384
	global_load_b128 v[52:55], v[254:255], off offset:9744
	global_load_b128 v[56:59], v[56:57], off
	s_wait_loadcnt 0x4
	v_mul_f64_e32 v[60:61], v[38:39], v[42:43]
	v_mul_f64_e32 v[42:43], v[36:37], v[42:43]
	s_wait_loadcnt 0x2
	v_mul_f64_e32 v[62:63], v[46:47], v[50:51]
	v_mul_f64_e32 v[50:51], v[44:45], v[50:51]
	;; [unrolled: 3-line block ×3, first 2 shown]
	v_fma_f64 v[36:37], v[36:37], v[40:41], v[60:61]
	v_fma_f64 v[38:39], v[38:39], v[40:41], -v[42:43]
	v_fma_f64 v[40:41], v[44:45], v[48:49], v[62:63]
	v_fma_f64 v[42:43], v[46:47], v[48:49], -v[50:51]
	;; [unrolled: 2-line block ×3, first 2 shown]
	ds_store_b128 v227, v[36:39] offset:3024
	ds_store_b128 v227, v[40:43] offset:6384
	;; [unrolled: 1-line block ×3, first 2 shown]
.LBB0_3:
	s_wait_alu 0xfffe
	s_or_b32 exec_lo, exec_lo, s12
	global_wb scope:SCOPE_SE
	s_wait_storecnt_dscnt 0x0
	s_wait_kmcnt 0x0
	s_barrier_signal -1
	s_barrier_wait -1
	global_inv scope:SCOPE_SE
	ds_load_b128 v[52:55], v227
	ds_load_b128 v[48:51], v227 offset:1008
	ds_load_b128 v[36:39], v227 offset:6720
	;; [unrolled: 1-line block ×8, first 2 shown]
                                        ; implicit-def: $vgpr60_vgpr61
                                        ; implicit-def: $vgpr76_vgpr77
                                        ; implicit-def: $vgpr80_vgpr81
	s_and_saveexec_b32 s2, vcc_lo
	s_cbranch_execz .LBB0_5
; %bb.4:
	ds_load_b128 v[60:63], v227 offset:3024
	ds_load_b128 v[76:79], v227 offset:6384
	;; [unrolled: 1-line block ×3, first 2 shown]
.LBB0_5:
	s_wait_alu 0xfffe
	s_or_b32 exec_lo, exec_lo, s2
	s_wait_dscnt 0x4
	v_add_f64_e32 v[84:85], v[72:73], v[36:37]
	v_add_f64_e32 v[86:87], v[74:75], v[38:39]
	s_wait_dscnt 0x2
	v_add_f64_e32 v[88:89], v[68:69], v[40:41]
	v_add_f64_e32 v[90:91], v[70:71], v[42:43]
	;; [unrolled: 3-line block ×3, first 2 shown]
	v_add_f64_e32 v[96:97], v[76:77], v[80:81]
	v_add_f64_e32 v[98:99], v[78:79], v[82:83]
	;; [unrolled: 1-line block ×3, first 2 shown]
	v_add_f64_e64 v[102:103], v[74:75], -v[38:39]
	v_add_f64_e32 v[74:75], v[54:55], v[74:75]
	v_add_f64_e32 v[112:113], v[60:61], v[76:77]
	;; [unrolled: 1-line block ×3, first 2 shown]
	v_add_f64_e64 v[72:73], v[72:73], -v[36:37]
	v_add_f64_e64 v[116:117], v[70:71], -v[42:43]
	;; [unrolled: 1-line block ×7, first 2 shown]
	v_add_f64_e32 v[104:105], v[48:49], v[68:69]
	v_add_f64_e32 v[106:107], v[50:51], v[70:71]
	;; [unrolled: 1-line block ×4, first 2 shown]
	s_mov_b32 s2, 0xe8584caa
	s_mov_b32 s3, 0x3febb67a
	;; [unrolled: 1-line block ×3, first 2 shown]
	s_wait_alu 0xfffe
	s_mov_b32 s10, s2
	v_add_co_u32 v168, null, v228, 63
	global_wb scope:SCOPE_SE
	s_barrier_signal -1
	s_barrier_wait -1
	global_inv scope:SCOPE_SE
	v_fma_f64 v[84:85], v[84:85], -0.5, v[52:53]
	v_fma_f64 v[86:87], v[86:87], -0.5, v[54:55]
	;; [unrolled: 1-line block ×8, first 2 shown]
	v_add_f64_e32 v[48:49], v[100:101], v[36:37]
	v_add_f64_e32 v[50:51], v[74:75], v[38:39]
	;; [unrolled: 1-line block ×8, first 2 shown]
	v_mul_lo_u16 v46, v228, 3
	v_mul_u32_u24_e32 v47, 3, v168
	s_delay_alu instid0(VALU_DEP_2) | instskip(NEXT) | instid1(VALU_DEP_2)
	v_and_b32_e32 v46, 0xffff, v46
	v_lshlrev_b32_e32 v47, 4, v47
	s_wait_alu 0xfffe
	v_fma_f64 v[56:57], v[102:103], s[10:11], v[84:85]
	v_fma_f64 v[54:55], v[72:73], s[10:11], v[86:87]
	;; [unrolled: 1-line block ×16, first 2 shown]
	s_load_b64 s[2:3], s[0:1], 0x8
	v_add_co_u32 v37, s0, 0x7e, v228
	s_wait_alu 0xf1ff
	v_add_co_ci_u32_e64 v36, null, 0, 0, s0
	v_add_co_u32 v36, null, 0xbd, v228
	s_delay_alu instid0(VALU_DEP_3) | instskip(SKIP_1) | instid1(VALU_DEP_3)
	v_mul_u32_u24_e32 v84, 3, v37
	v_lshlrev_b32_e32 v85, 4, v46
	v_mul_u32_u24_e32 v46, 3, v36
	scratch_store_b32 off, v46, off offset:44 ; 4-byte Folded Spill
	v_lshlrev_b32_e32 v46, 4, v84
	ds_store_b128 v85, v[48:51]
	ds_store_b128 v85, v[52:55] offset:16
	scratch_store_b32 off, v85, off offset:16 ; 4-byte Folded Spill
	ds_store_b128 v85, v[56:59] offset:32
	ds_store_b128 v47, v[38:41]
	ds_store_b128 v47, v[60:63] offset:16
	scratch_store_b32 off, v47, off offset:20 ; 4-byte Folded Spill
	ds_store_b128 v47, v[64:67] offset:32
	;; [unrolled: 4-line block ×3, first 2 shown]
	s_and_saveexec_b32 s0, vcc_lo
	s_cbranch_execz .LBB0_7
; %bb.6:
	v_mul_u32_u24_e32 v38, 3, v36
	s_delay_alu instid0(VALU_DEP_1)
	v_lshlrev_b32_e32 v38, 4, v38
	ds_store_b128 v38, v[68:71]
	ds_store_b128 v38, v[72:75] offset:16
	ds_store_b128 v38, v[88:91] offset:32
.LBB0_7:
	s_wait_alu 0xfffe
	s_or_b32 exec_lo, exec_lo, s0
	global_wb scope:SCOPE_SE
	s_wait_storecnt_dscnt 0x0
	s_wait_kmcnt 0x0
	s_barrier_signal -1
	s_barrier_wait -1
	global_inv scope:SCOPE_SE
	ds_load_b128 v[80:83], v227
	ds_load_b128 v[76:79], v227 offset:1008
	ds_load_b128 v[104:107], v227 offset:6720
	;; [unrolled: 1-line block ×8, first 2 shown]
	s_and_saveexec_b32 s0, vcc_lo
	s_cbranch_execz .LBB0_9
; %bb.8:
	ds_load_b128 v[68:71], v227 offset:3024
	ds_load_b128 v[72:75], v227 offset:6384
	;; [unrolled: 1-line block ×3, first 2 shown]
.LBB0_9:
	s_wait_alu 0xfffe
	s_or_b32 exec_lo, exec_lo, s0
	v_and_b32_e32 v116, 0xff, v228
	v_and_b32_e32 v169, 0xff, v168
	;; [unrolled: 1-line block ×3, first 2 shown]
	s_mov_b32 s0, 0xe8584caa
	s_mov_b32 s1, 0x3febb67a
	v_mul_lo_u16 v38, 0xab, v116
	v_mul_lo_u16 v40, 0xab, v169
	;; [unrolled: 1-line block ×3, first 2 shown]
	s_wait_alu 0xfffe
	s_mov_b32 s10, s0
	v_lshrrev_b16 v156, 9, v38
	v_and_b32_e32 v38, 0xff, v36
	v_lshrrev_b16 v157, 9, v40
	v_lshrrev_b16 v158, 9, v39
	s_delay_alu instid0(VALU_DEP_4) | instskip(NEXT) | instid1(VALU_DEP_4)
	v_mul_lo_u16 v40, v156, 3
	v_mul_lo_u16 v38, 0xab, v38
	s_delay_alu instid0(VALU_DEP_4) | instskip(NEXT) | instid1(VALU_DEP_3)
	v_mul_lo_u16 v39, v157, 3
	v_sub_nc_u16 v40, v228, v40
	s_delay_alu instid0(VALU_DEP_3) | instskip(SKIP_1) | instid1(VALU_DEP_4)
	v_lshrrev_b16 v159, 9, v38
	v_mul_lo_u16 v38, v158, 3
	v_sub_nc_u16 v39, v168, v39
	s_delay_alu instid0(VALU_DEP_4) | instskip(NEXT) | instid1(VALU_DEP_4)
	v_and_b32_e32 v160, 0xff, v40
	v_mul_lo_u16 v40, v159, 3
	s_delay_alu instid0(VALU_DEP_4) | instskip(NEXT) | instid1(VALU_DEP_4)
	v_sub_nc_u16 v37, v37, v38
	v_and_b32_e32 v161, 0xff, v39
	s_delay_alu instid0(VALU_DEP_4) | instskip(NEXT) | instid1(VALU_DEP_4)
	v_lshlrev_b32_e32 v38, 5, v160
	v_sub_nc_u16 v36, v36, v40
	s_delay_alu instid0(VALU_DEP_4) | instskip(NEXT) | instid1(VALU_DEP_4)
	v_and_b32_e32 v162, 0xff, v37
	v_lshlrev_b32_e32 v37, 5, v161
	s_clause 0x1
	global_load_b128 v[48:51], v38, s[2:3]
	global_load_b128 v[44:47], v38, s[2:3] offset:16
	v_and_b32_e32 v38, 0xff, v36
	v_lshlrev_b32_e32 v36, 5, v162
	s_clause 0x1
	global_load_b128 v[56:59], v37, s[2:3]
	global_load_b128 v[52:55], v37, s[2:3] offset:16
	v_lshlrev_b32_e32 v60, 5, v38
	scratch_store_b32 off, v38, off offset:8 ; 4-byte Folded Spill
	s_clause 0x3
	global_load_b128 v[40:43], v36, s[2:3]
	global_load_b128 v[36:39], v36, s[2:3] offset:16
	global_load_b128 v[64:67], v60, s[2:3]
	global_load_b128 v[60:63], v60, s[2:3] offset:16
	s_wait_loadcnt_dscnt 0x704
	v_mul_f64_e32 v[117:118], v[114:115], v[50:51]
	s_wait_loadcnt 0x6
	v_mul_f64_e32 v[119:120], v[106:107], v[46:47]
	v_mul_f64_e32 v[121:122], v[112:113], v[50:51]
	;; [unrolled: 1-line block ×3, first 2 shown]
	s_wait_loadcnt_dscnt 0x502
	v_mul_f64_e32 v[125:126], v[110:111], v[58:59]
	s_wait_loadcnt 0x4
	v_mul_f64_e32 v[127:128], v[94:95], v[54:55]
	v_mul_f64_e32 v[129:130], v[108:109], v[58:59]
	;; [unrolled: 1-line block ×3, first 2 shown]
	s_wait_loadcnt_dscnt 0x301
	v_mul_f64_e32 v[133:134], v[98:99], v[42:43]
	s_wait_loadcnt_dscnt 0x200
	v_mul_f64_e32 v[135:136], v[102:103], v[38:39]
	v_mul_f64_e32 v[137:138], v[96:97], v[42:43]
	;; [unrolled: 1-line block ×3, first 2 shown]
	s_wait_loadcnt 0x1
	v_mul_f64_e32 v[141:142], v[74:75], v[66:67]
	s_wait_loadcnt 0x0
	v_mul_f64_e32 v[143:144], v[90:91], v[62:63]
	v_mul_f64_e32 v[145:146], v[72:73], v[66:67]
	;; [unrolled: 1-line block ×3, first 2 shown]
	v_fma_f64 v[112:113], v[112:113], v[48:49], -v[117:118]
	v_fma_f64 v[104:105], v[104:105], v[44:45], -v[119:120]
	v_fma_f64 v[114:115], v[114:115], v[48:49], v[121:122]
	v_fma_f64 v[106:107], v[106:107], v[44:45], v[123:124]
	v_fma_f64 v[108:109], v[108:109], v[56:57], -v[125:126]
	v_fma_f64 v[117:118], v[92:93], v[52:53], -v[127:128]
	v_fma_f64 v[110:111], v[110:111], v[56:57], v[129:130]
	v_fma_f64 v[94:95], v[94:95], v[52:53], v[131:132]
	v_fma_f64 v[96:97], v[96:97], v[40:41], -v[133:134]
	v_fma_f64 v[100:101], v[100:101], v[36:37], -v[135:136]
	v_fma_f64 v[98:99], v[98:99], v[40:41], v[137:138]
	v_fma_f64 v[102:103], v[102:103], v[36:37], v[139:140]
	v_fma_f64 v[92:93], v[72:73], v[64:65], -v[141:142]
	v_fma_f64 v[72:73], v[88:89], v[60:61], -v[143:144]
	v_fma_f64 v[88:89], v[74:75], v[64:65], v[145:146]
	v_fma_f64 v[74:75], v[90:91], v[60:61], v[147:148]
	v_add_f64_e32 v[133:134], v[80:81], v[112:113]
	v_add_f64_e32 v[90:91], v[112:113], v[104:105]
	v_add_f64_e64 v[112:113], v[112:113], -v[104:105]
	v_add_f64_e32 v[119:120], v[114:115], v[106:107]
	v_add_f64_e64 v[135:136], v[114:115], -v[106:107]
	v_add_f64_e32 v[121:122], v[108:109], v[117:118]
	v_add_f64_e32 v[114:115], v[82:83], v[114:115]
	v_add_f64_e32 v[123:124], v[110:111], v[94:95]
	v_add_f64_e32 v[137:138], v[76:77], v[108:109]
	v_add_f64_e32 v[125:126], v[96:97], v[100:101]
	v_add_f64_e32 v[139:140], v[78:79], v[110:111]
	v_add_f64_e32 v[127:128], v[98:99], v[102:103]
	v_add_f64_e32 v[141:142], v[84:85], v[96:97]
	v_add_f64_e32 v[129:130], v[92:93], v[72:73]
	v_add_f64_e64 v[110:111], v[110:111], -v[94:95]
	v_add_f64_e32 v[131:132], v[88:89], v[74:75]
	v_add_f64_e64 v[108:109], v[108:109], -v[117:118]
	v_add_f64_e64 v[145:146], v[98:99], -v[102:103]
	v_add_f64_e64 v[147:148], v[96:97], -v[100:101]
	v_add_f64_e64 v[150:151], v[88:89], -v[74:75]
	v_add_f64_e64 v[154:155], v[92:93], -v[72:73]
	v_add_f64_e32 v[143:144], v[86:87], v[98:99]
	v_fma_f64 v[90:91], v[90:91], -0.5, v[80:81]
	v_fma_f64 v[119:120], v[119:120], -0.5, v[82:83]
	;; [unrolled: 1-line block ×3, first 2 shown]
	v_add_f64_e32 v[76:77], v[133:134], v[104:105]
	v_fma_f64 v[123:124], v[123:124], -0.5, v[78:79]
	v_add_f64_e32 v[78:79], v[114:115], v[106:107]
	v_fma_f64 v[125:126], v[125:126], -0.5, v[84:85]
	;; [unrolled: 2-line block ×5, first 2 shown]
	v_and_b32_e32 v114, 0xffff, v158
	v_and_b32_e32 v115, 0xffff, v159
	v_add_f64_e32 v[86:87], v[143:144], v[102:103]
	s_delay_alu instid0(VALU_DEP_3)
	v_mul_u32_u24_e32 v114, 9, v114
	scratch_store_b32 off, v115, off offset:28 ; 4-byte Folded Spill
	global_wb scope:SCOPE_SE
	s_wait_storecnt 0x0
	s_barrier_signal -1
	s_barrier_wait -1
	global_inv scope:SCOPE_SE
	s_wait_alu 0xfffe
	v_fma_f64 v[98:99], v[135:136], s[10:11], v[90:91]
	v_fma_f64 v[94:95], v[135:136], s[0:1], v[90:91]
	;; [unrolled: 1-line block ×16, first 2 shown]
	v_and_b32_e32 v90, 0xffff, v156
	v_and_b32_e32 v91, 0xffff, v157
	s_delay_alu instid0(VALU_DEP_2) | instskip(NEXT) | instid1(VALU_DEP_2)
	v_mul_u32_u24_e32 v90, 9, v90
	v_mul_u32_u24_e32 v91, 9, v91
	s_delay_alu instid0(VALU_DEP_2) | instskip(NEXT) | instid1(VALU_DEP_2)
	v_add_lshl_u32 v115, v90, v160, 4
	v_add_lshl_u32 v91, v91, v161, 4
	v_add_lshl_u32 v90, v114, v162, 4
	ds_store_b128 v115, v[76:79]
	ds_store_b128 v115, v[94:97] offset:48
	scratch_store_b32 off, v115, off offset:40 ; 4-byte Folded Spill
	ds_store_b128 v115, v[98:101] offset:96
	ds_store_b128 v91, v[80:83]
	ds_store_b128 v91, v[102:105] offset:48
	scratch_store_b32 off, v91, off offset:36 ; 4-byte Folded Spill
	ds_store_b128 v91, v[106:109] offset:96
	ds_store_b128 v90, v[84:87]
	ds_store_b128 v90, v[110:113] offset:48
	scratch_store_b32 off, v90, off offset:32 ; 4-byte Folded Spill
	ds_store_b128 v90, v[117:120] offset:96
	s_and_saveexec_b32 s0, vcc_lo
	s_cbranch_execz .LBB0_11
; %bb.10:
	v_add_f64_e32 v[68:69], v[68:69], v[92:93]
	v_add_f64_e32 v[70:71], v[70:71], v[88:89]
	s_delay_alu instid0(VALU_DEP_2)
	v_add_f64_e32 v[68:69], v[68:69], v[72:73]
	s_clause 0x1
	scratch_load_b32 v72, off, off offset:28
	scratch_load_b32 v73, off, off offset:8
	v_add_f64_e32 v[70:71], v[70:71], v[74:75]
	s_wait_loadcnt 0x1
	v_mul_u32_u24_e32 v72, 9, v72
	s_wait_loadcnt 0x0
	s_delay_alu instid0(VALU_DEP_1)
	v_add_lshl_u32 v72, v72, v73, 4
	ds_store_b128 v72, v[68:71]
	ds_store_b128 v72, v[148:151] offset:48
	ds_store_b128 v72, v[152:155] offset:96
.LBB0_11:
	s_wait_alu 0xfffe
	s_or_b32 exec_lo, exec_lo, s0
	v_mul_lo_u16 v68, v116, 57
	global_wb scope:SCOPE_SE
	s_wait_storecnt_dscnt 0x0
	s_barrier_signal -1
	s_barrier_wait -1
	global_inv scope:SCOPE_SE
	v_lshrrev_b16 v214, 9, v68
	v_mul_lo_u16 v68, v169, 57
	s_mov_b32 s0, 0x134454ff
	s_mov_b32 s1, 0x3fee6f0e
	;; [unrolled: 1-line block ×3, first 2 shown]
	v_mul_lo_u16 v69, v214, 9
	v_lshrrev_b16 v215, 9, v68
	s_wait_alu 0xfffe
	s_mov_b32 s10, s0
	s_delay_alu instid0(VALU_DEP_2) | instskip(NEXT) | instid1(VALU_DEP_2)
	v_sub_nc_u16 v68, v228, v69
	v_mul_lo_u16 v69, v215, 9
	s_delay_alu instid0(VALU_DEP_2) | instskip(NEXT) | instid1(VALU_DEP_2)
	v_and_b32_e32 v216, 0xff, v68
	v_sub_nc_u16 v68, v168, v69
	s_delay_alu instid0(VALU_DEP_2) | instskip(NEXT) | instid1(VALU_DEP_2)
	v_lshlrev_b32_e32 v76, 6, v216
	v_and_b32_e32 v217, 0xff, v68
	s_clause 0x2
	global_load_b128 v[80:83], v76, s[2:3] offset:96
	global_load_b128 v[72:75], v76, s[2:3] offset:112
	;; [unrolled: 1-line block ×3, first 2 shown]
	v_lshlrev_b32_e32 v88, 6, v217
	s_clause 0x4
	global_load_b128 v[76:79], v76, s[2:3] offset:144
	global_load_b128 v[84:87], v88, s[2:3] offset:96
	;; [unrolled: 1-line block ×5, first 2 shown]
	ds_load_b128 v[100:103], v227 offset:2016
	ds_load_b128 v[104:107], v227 offset:4032
	;; [unrolled: 1-line block ×8, first 2 shown]
	s_wait_loadcnt_dscnt 0x707
	v_mul_f64_e32 v[138:139], v[100:101], v[82:83]
	s_wait_loadcnt_dscnt 0x606
	v_mul_f64_e32 v[134:135], v[106:107], v[74:75]
	;; [unrolled: 2-line block ×3, first 2 shown]
	v_mul_f64_e32 v[142:143], v[104:105], v[74:75]
	v_mul_f64_e32 v[144:145], v[108:109], v[70:71]
	v_mul_f64_e32 v[132:133], v[102:103], v[82:83]
	s_wait_loadcnt_dscnt 0x404
	v_mul_f64_e32 v[140:141], v[114:115], v[78:79]
	v_mul_f64_e32 v[146:147], v[112:113], v[78:79]
	s_wait_loadcnt_dscnt 0x202
	v_mul_f64_e32 v[158:159], v[122:123], v[98:99]
	s_wait_loadcnt_dscnt 0x101
	v_mul_f64_e32 v[160:161], v[126:127], v[94:95]
	v_mul_f64_e32 v[162:163], v[120:121], v[98:99]
	v_mul_f64_e32 v[166:167], v[124:125], v[94:95]
	v_mul_f64_e32 v[156:157], v[118:119], v[86:87]
	s_wait_loadcnt_dscnt 0x0
	v_mul_f64_e32 v[164:165], v[130:131], v[90:91]
	v_mul_f64_e32 v[170:171], v[116:117], v[86:87]
	;; [unrolled: 1-line block ×3, first 2 shown]
	v_fma_f64 v[134:135], v[104:105], v[72:73], -v[134:135]
	v_fma_f64 v[108:109], v[108:109], v[68:69], -v[136:137]
	v_fma_f64 v[136:137], v[102:103], v[80:81], v[138:139]
	v_fma_f64 v[138:139], v[106:107], v[72:73], v[142:143]
	;; [unrolled: 1-line block ×3, first 2 shown]
	v_fma_f64 v[132:133], v[100:101], v[80:81], -v[132:133]
	v_fma_f64 v[112:113], v[112:113], v[76:77], -v[140:141]
	v_fma_f64 v[114:115], v[114:115], v[76:77], v[146:147]
	v_fma_f64 v[120:121], v[120:121], v[96:97], -v[158:159]
	v_fma_f64 v[124:125], v[124:125], v[92:93], -v[160:161]
	v_fma_f64 v[122:123], v[122:123], v[96:97], v[162:163]
	v_fma_f64 v[126:127], v[126:127], v[92:93], v[166:167]
	v_fma_f64 v[116:117], v[116:117], v[84:85], -v[156:157]
	v_fma_f64 v[128:129], v[128:129], v[88:89], -v[164:165]
	v_fma_f64 v[118:119], v[118:119], v[84:85], v[170:171]
	v_fma_f64 v[130:131], v[130:131], v[88:89], v[172:173]
	ds_load_b128 v[100:103], v227
	ds_load_b128 v[104:107], v227 offset:1008
	global_wb scope:SCOPE_SE
	s_wait_dscnt 0x0
	s_barrier_signal -1
	s_barrier_wait -1
	global_inv scope:SCOPE_SE
	v_add_f64_e32 v[140:141], v[134:135], v[108:109]
	v_add_f64_e32 v[172:173], v[102:103], v[136:137]
	v_add_f64_e64 v[188:189], v[136:137], -v[138:139]
	v_add_f64_e32 v[144:145], v[138:139], v[110:111]
	v_add_f64_e32 v[164:165], v[100:101], v[132:133]
	;; [unrolled: 1-line block ×4, first 2 shown]
	v_add_f64_e64 v[166:167], v[136:137], -v[114:115]
	v_add_f64_e32 v[156:157], v[120:121], v[124:125]
	v_add_f64_e64 v[178:179], v[132:133], -v[112:113]
	v_add_f64_e32 v[160:161], v[122:123], v[126:127]
	v_add_f64_e32 v[174:175], v[104:105], v[116:117]
	;; [unrolled: 1-line block ×5, first 2 shown]
	v_add_f64_e64 v[170:171], v[138:139], -v[110:111]
	v_add_f64_e64 v[180:181], v[118:119], -v[130:131]
	;; [unrolled: 1-line block ×16, first 2 shown]
	v_fma_f64 v[140:141], v[140:141], -0.5, v[100:101]
	v_add_f64_e32 v[138:139], v[172:173], v[138:139]
	v_fma_f64 v[144:145], v[144:145], -0.5, v[102:103]
	v_fma_f64 v[100:101], v[142:143], -0.5, v[100:101]
	v_add_f64_e64 v[142:143], v[134:135], -v[108:109]
	v_fma_f64 v[102:103], v[146:147], -0.5, v[102:103]
	v_fma_f64 v[156:157], v[156:157], -0.5, v[104:105]
	v_add_f64_e64 v[146:147], v[122:123], -v[126:127]
	;; [unrolled: 3-line block ×3, first 2 shown]
	v_fma_f64 v[106:107], v[162:163], -0.5, v[106:107]
	v_add_f64_e64 v[162:163], v[132:133], -v[134:135]
	v_add_f64_e64 v[132:133], v[134:135], -v[132:133]
	v_add_f64_e32 v[134:135], v[164:165], v[134:135]
	v_add_f64_e32 v[120:121], v[174:175], v[120:121]
	;; [unrolled: 1-line block ×5, first 2 shown]
	v_fma_f64 v[164:165], v[166:167], s[0:1], v[140:141]
	s_wait_alu 0xfffe
	v_fma_f64 v[140:141], v[166:167], s[10:11], v[140:141]
	v_add_f64_e32 v[110:111], v[138:139], v[110:111]
	v_fma_f64 v[174:175], v[178:179], s[10:11], v[144:145]
	v_fma_f64 v[144:145], v[178:179], s[0:1], v[144:145]
	v_fma_f64 v[172:173], v[170:171], s[10:11], v[100:101]
	v_fma_f64 v[100:101], v[170:171], s[0:1], v[100:101]
	v_fma_f64 v[176:177], v[142:143], s[0:1], v[102:103]
	v_fma_f64 v[102:103], v[142:143], s[10:11], v[102:103]
	v_fma_f64 v[206:207], v[180:181], s[0:1], v[156:157]
	v_fma_f64 v[210:211], v[182:183], s[10:11], v[160:161]
	v_fma_f64 v[156:157], v[180:181], s[10:11], v[156:157]
	v_fma_f64 v[208:209], v[146:147], s[10:11], v[104:105]
	v_fma_f64 v[104:105], v[146:147], s[0:1], v[104:105]
	v_fma_f64 v[212:213], v[158:159], s[0:1], v[106:107]
	v_fma_f64 v[106:107], v[158:159], s[10:11], v[106:107]
	v_fma_f64 v[160:161], v[182:183], s[0:1], v[160:161]
	s_mov_b32 s0, 0x4755a5e
	s_mov_b32 s1, 0x3fe2cf23
	;; [unrolled: 1-line block ×3, first 2 shown]
	s_wait_alu 0xfffe
	s_mov_b32 s10, s0
	v_add_f64_e32 v[108:109], v[134:135], v[108:109]
	v_add_f64_e32 v[162:163], v[162:163], v[184:185]
	;; [unrolled: 1-line block ×9, first 2 shown]
	v_fma_f64 v[120:121], v[170:171], s[0:1], v[164:165]
	s_wait_alu 0xfffe
	v_fma_f64 v[122:123], v[170:171], s[10:11], v[140:141]
	v_fma_f64 v[134:135], v[142:143], s[10:11], v[174:175]
	;; [unrolled: 1-line block ×15, first 2 shown]
	s_mov_b32 s0, 0x372fe950
	s_mov_b32 s1, 0x3fd3c6ef
	v_add_f64_e32 v[102:103], v[110:111], v[114:115]
	v_add_f64_e32 v[100:101], v[108:109], v[112:113]
	;; [unrolled: 1-line block ×4, first 2 shown]
	s_wait_alu 0xfffe
	v_fma_f64 v[116:117], v[162:163], s[0:1], v[120:121]
	v_fma_f64 v[120:121], v[162:163], s[0:1], v[122:123]
	;; [unrolled: 1-line block ×16, first 2 shown]
	v_and_b32_e32 v136, 0xffff, v214
	v_and_b32_e32 v137, 0xffff, v215
	v_cmp_gt_u16_e64 s0, 27, v228
                                        ; implicit-def: $vgpr164_vgpr165
	s_delay_alu instid0(VALU_DEP_3) | instskip(NEXT) | instid1(VALU_DEP_3)
	v_mul_u32_u24_e32 v136, 45, v136
	v_mul_u32_u24_e32 v137, 45, v137
	s_delay_alu instid0(VALU_DEP_2) | instskip(NEXT) | instid1(VALU_DEP_2)
	v_add_lshl_u32 v240, v136, v216, 4
	v_add_lshl_u32 v239, v137, v217, 4
	ds_store_b128 v240, v[100:103]
	ds_store_b128 v240, v[116:119] offset:144
	ds_store_b128 v240, v[124:127] offset:288
	;; [unrolled: 1-line block ×4, first 2 shown]
	ds_store_b128 v239, v[104:107]
	ds_store_b128 v239, v[132:135] offset:144
	ds_store_b128 v239, v[156:159] offset:288
	;; [unrolled: 1-line block ×4, first 2 shown]
	global_wb scope:SCOPE_SE
	s_wait_dscnt 0x0
	s_barrier_signal -1
	s_barrier_wait -1
	global_inv scope:SCOPE_SE
	ds_load_b128 v[160:163], v227
	ds_load_b128 v[136:139], v227 offset:1440
	ds_load_b128 v[132:135], v227 offset:2880
	;; [unrolled: 1-line block ×6, first 2 shown]
                                        ; implicit-def: $vgpr120_vgpr121
	s_and_saveexec_b32 s1, s0
	s_cbranch_execz .LBB0_13
; %bb.12:
	ds_load_b128 v[156:159], v227 offset:1008
	ds_load_b128 v[108:111], v227 offset:2448
	;; [unrolled: 1-line block ×7, first 2 shown]
.LBB0_13:
	s_wait_alu 0xfffe
	s_or_b32 exec_lo, exec_lo, s1
	v_subrev_nc_u32_e32 v124, 45, v228
	v_cmp_gt_u16_e64 s1, 45, v228
	s_mov_b32 s28, 0xe976ee23
	s_mov_b32 s29, 0xbfe11646
	;; [unrolled: 1-line block ×4, first 2 shown]
	s_wait_alu 0xf1ff
	v_cndmask_b32_e64 v170, v124, v228, s1
	s_mov_b32 s12, 0x37c3f68c
	s_mov_b32 s18, 0x37e14327
	;; [unrolled: 1-line block ×4, first 2 shown]
	v_mul_i32_i24_e32 v124, 0x60, v170
	v_mul_hi_i32_i24_e32 v125, 0x60, v170
	s_mov_b32 s26, 0xaaaaaaaa
	s_mov_b32 s10, 0x36b3c0b5
	;; [unrolled: 1-line block ×3, first 2 shown]
	v_add_co_u32 v144, s1, s2, v124
	s_wait_alu 0xf1ff
	v_add_co_ci_u32_e64 v145, s1, s3, v125, s1
	s_mov_b32 s22, 0xb247c609
	s_mov_b32 s27, 0xbff2aaaa
	s_clause 0x1
	global_load_b128 v[124:127], v[144:145], off offset:672
	global_load_b128 v[128:131], v[144:145], off offset:688
	s_mov_b32 s11, 0x3fac98ee
	s_mov_b32 s31, 0x3fe77f67
	;; [unrolled: 1-line block ×7, first 2 shown]
	v_cmp_lt_u16_e64 s1, 44, v228
	s_wait_loadcnt_dscnt 0x105
	v_mul_f64_e32 v[146:147], v[138:139], v[126:127]
	s_delay_alu instid0(VALU_DEP_1) | instskip(SKIP_1) | instid1(VALU_DEP_1)
	v_fma_f64 v[171:172], v[136:137], v[124:125], -v[146:147]
	v_mul_f64_e32 v[136:137], v[136:137], v[126:127]
	v_fma_f64 v[173:174], v[138:139], v[124:125], v[136:137]
	s_wait_loadcnt_dscnt 0x4
	v_mul_f64_e32 v[136:137], v[134:135], v[130:131]
	s_delay_alu instid0(VALU_DEP_1) | instskip(SKIP_1) | instid1(VALU_DEP_1)
	v_fma_f64 v[175:176], v[132:133], v[128:129], -v[136:137]
	v_mul_f64_e32 v[132:133], v[132:133], v[130:131]
	v_fma_f64 v[177:178], v[134:135], v[128:129], v[132:133]
	s_clause 0x1
	global_load_b128 v[132:135], v[144:145], off offset:752
	global_load_b128 v[136:139], v[144:145], off offset:736
	s_wait_loadcnt_dscnt 0x100
	v_mul_f64_e32 v[146:147], v[142:143], v[134:135]
	s_delay_alu instid0(VALU_DEP_1) | instskip(SKIP_1) | instid1(VALU_DEP_1)
	v_fma_f64 v[179:180], v[140:141], v[132:133], -v[146:147]
	v_mul_f64_e32 v[140:141], v[140:141], v[134:135]
	v_fma_f64 v[181:182], v[142:143], v[132:133], v[140:141]
	s_wait_loadcnt 0x0
	v_mul_f64_e32 v[140:141], v[118:119], v[138:139]
	s_delay_alu instid0(VALU_DEP_2) | instskip(NEXT) | instid1(VALU_DEP_2)
	v_add_f64_e32 v[221:222], v[173:174], v[181:182]
	v_fma_f64 v[183:184], v[116:117], v[136:137], -v[140:141]
	s_clause 0x1
	global_load_b128 v[140:143], v[144:145], off offset:704
	global_load_b128 v[144:147], v[144:145], off offset:720
	v_mul_f64_e32 v[116:117], v[116:117], v[138:139]
	v_add_f64_e64 v[173:174], v[173:174], -v[181:182]
	s_delay_alu instid0(VALU_DEP_2) | instskip(NEXT) | instid1(VALU_DEP_1)
	v_fma_f64 v[185:186], v[118:119], v[136:137], v[116:117]
	v_add_f64_e32 v[223:224], v[177:178], v[185:186]
	s_wait_loadcnt 0x1
	v_mul_f64_e32 v[116:117], v[106:107], v[142:143]
	s_delay_alu instid0(VALU_DEP_1) | instskip(SKIP_1) | instid1(VALU_DEP_1)
	v_fma_f64 v[187:188], v[104:105], v[140:141], -v[116:117]
	v_mul_f64_e32 v[104:105], v[104:105], v[142:143]
	v_fma_f64 v[189:190], v[106:107], v[140:141], v[104:105]
	s_wait_loadcnt 0x0
	v_mul_f64_e32 v[104:105], v[102:103], v[146:147]
	s_delay_alu instid0(VALU_DEP_1) | instskip(SKIP_1) | instid1(VALU_DEP_2)
	v_fma_f64 v[191:192], v[100:101], v[144:145], -v[104:105]
	v_mul_f64_e32 v[100:101], v[100:101], v[146:147]
	v_add_f64_e32 v[217:218], v[187:188], v[191:192]
	s_delay_alu instid0(VALU_DEP_2) | instskip(SKIP_1) | instid1(VALU_DEP_1)
	v_fma_f64 v[193:194], v[102:103], v[144:145], v[100:101]
	v_mul_lo_u16 v100, 0x6d, v169
	v_lshrrev_b16 v100, 8, v100
	s_delay_alu instid0(VALU_DEP_1) | instskip(NEXT) | instid1(VALU_DEP_1)
	v_sub_nc_u16 v101, v168, v100
	v_lshrrev_b16 v101, 1, v101
	s_delay_alu instid0(VALU_DEP_1) | instskip(NEXT) | instid1(VALU_DEP_1)
	v_and_b32_e32 v101, 0x7f, v101
	v_add_nc_u16 v100, v101, v100
	s_delay_alu instid0(VALU_DEP_1) | instskip(NEXT) | instid1(VALU_DEP_1)
	v_lshrrev_b16 v100, 5, v100
	v_mul_lo_u16 v100, v100, 45
	v_add_f64_e32 v[229:230], v[189:190], v[193:194]
	s_delay_alu instid0(VALU_DEP_2) | instskip(NEXT) | instid1(VALU_DEP_1)
	v_sub_nc_u16 v100, v168, v100
	v_and_b32_e32 v100, 0xff, v100
	s_delay_alu instid0(VALU_DEP_1)
	v_mad_co_u64_u32 v[168:169], null, 0x60, v100, s[2:3]
	scratch_store_b32 off, v100, off offset:24 ; 4-byte Folded Spill
	s_clause 0x1
	global_load_b128 v[100:103], v[168:169], off offset:672
	global_load_b128 v[104:107], v[168:169], off offset:688
	s_wait_loadcnt 0x1
	v_mul_f64_e32 v[116:117], v[110:111], v[102:103]
	s_delay_alu instid0(VALU_DEP_1) | instskip(SKIP_1) | instid1(VALU_DEP_1)
	v_fma_f64 v[195:196], v[108:109], v[100:101], -v[116:117]
	v_mul_f64_e32 v[108:109], v[108:109], v[102:103]
	v_fma_f64 v[197:198], v[110:111], v[100:101], v[108:109]
	s_wait_loadcnt 0x0
	v_mul_f64_e32 v[108:109], v[114:115], v[106:107]
	s_delay_alu instid0(VALU_DEP_1) | instskip(SKIP_1) | instid1(VALU_DEP_1)
	v_fma_f64 v[199:200], v[112:113], v[104:105], -v[108:109]
	v_mul_f64_e32 v[108:109], v[112:113], v[106:107]
	v_fma_f64 v[201:202], v[114:115], v[104:105], v[108:109]
	s_clause 0x1
	global_load_b128 v[108:111], v[168:169], off offset:752
	global_load_b128 v[112:115], v[168:169], off offset:736
	s_wait_loadcnt 0x1
	v_mul_f64_e32 v[116:117], v[166:167], v[110:111]
	s_delay_alu instid0(VALU_DEP_1) | instskip(SKIP_1) | instid1(VALU_DEP_2)
	v_fma_f64 v[203:204], v[164:165], v[108:109], -v[116:117]
	v_mul_f64_e32 v[116:117], v[164:165], v[110:111]
	v_add_f64_e32 v[233:234], v[195:196], v[203:204]
	s_delay_alu instid0(VALU_DEP_2) | instskip(SKIP_3) | instid1(VALU_DEP_3)
	v_fma_f64 v[205:206], v[166:167], v[108:109], v[116:117]
	s_wait_loadcnt 0x0
	v_mul_f64_e32 v[116:117], v[122:123], v[114:115]
	v_add_f64_e32 v[166:167], v[175:176], v[183:184]
	v_add_f64_e32 v[246:247], v[197:198], v[205:206]
	s_delay_alu instid0(VALU_DEP_3) | instskip(SKIP_1) | instid1(VALU_DEP_2)
	v_fma_f64 v[207:208], v[120:121], v[112:113], -v[116:117]
	v_mul_f64_e32 v[116:117], v[120:121], v[114:115]
	v_add_f64_e32 v[235:236], v[199:200], v[207:208]
	s_delay_alu instid0(VALU_DEP_2)
	v_fma_f64 v[209:210], v[122:123], v[112:113], v[116:117]
	s_clause 0x1
	global_load_b128 v[116:119], v[168:169], off offset:704
	global_load_b128 v[120:123], v[168:169], off offset:720
	global_wb scope:SCOPE_SE
	s_wait_loadcnt 0x0
	s_wait_storecnt 0x0
	s_barrier_signal -1
	s_barrier_wait -1
	global_inv scope:SCOPE_SE
	v_add_f64_e32 v[248:249], v[201:202], v[209:210]
	v_mul_f64_e32 v[164:165], v[150:151], v[118:119]
	s_delay_alu instid0(VALU_DEP_1) | instskip(SKIP_3) | instid1(VALU_DEP_3)
	v_fma_f64 v[168:169], v[148:149], v[116:117], -v[164:165]
	v_mul_f64_e32 v[148:149], v[148:149], v[118:119]
	v_add_f64_e32 v[164:165], v[171:172], v[179:180]
	v_add_f64_e64 v[171:172], v[171:172], -v[179:180]
	v_fma_f64 v[211:212], v[150:151], v[116:117], v[148:149]
	v_mul_f64_e32 v[148:149], v[154:155], v[122:123]
	s_delay_alu instid0(VALU_DEP_1) | instskip(SKIP_1) | instid1(VALU_DEP_2)
	v_fma_f64 v[213:214], v[152:153], v[120:121], -v[148:149]
	v_mul_f64_e32 v[148:149], v[152:153], v[122:123]
	v_add_f64_e32 v[242:243], v[168:169], v[213:214]
	s_delay_alu instid0(VALU_DEP_2) | instskip(SKIP_2) | instid1(VALU_DEP_3)
	v_fma_f64 v[215:216], v[154:155], v[120:121], v[148:149]
	v_add_f64_e32 v[148:149], v[166:167], v[164:165]
	v_add_f64_e64 v[168:169], v[213:214], -v[168:169]
	v_add_f64_e32 v[250:251], v[211:212], v[215:216]
	s_delay_alu instid0(VALU_DEP_3) | instskip(SKIP_1) | instid1(VALU_DEP_2)
	v_add_f64_e32 v[219:220], v[217:218], v[148:149]
	v_add_f64_e32 v[148:149], v[223:224], v[221:222]
	;; [unrolled: 1-line block ×3, first 2 shown]
	s_delay_alu instid0(VALU_DEP_2) | instskip(SKIP_1) | instid1(VALU_DEP_3)
	v_add_f64_e32 v[231:232], v[229:230], v[148:149]
	v_add_f64_e32 v[148:149], v[235:236], v[233:234]
	v_fma_f64 v[219:220], v[219:220], s[26:27], v[152:153]
	s_delay_alu instid0(VALU_DEP_3) | instskip(NEXT) | instid1(VALU_DEP_3)
	v_add_f64_e32 v[154:155], v[162:163], v[231:232]
	v_add_f64_e32 v[244:245], v[242:243], v[148:149]
	v_add_f64_e32 v[148:149], v[248:249], v[246:247]
	s_delay_alu instid0(VALU_DEP_3) | instskip(NEXT) | instid1(VALU_DEP_2)
	v_fma_f64 v[231:232], v[231:232], s[26:27], v[154:155]
	v_add_f64_e32 v[252:253], v[250:251], v[148:149]
	s_delay_alu instid0(VALU_DEP_4)
	v_add_f64_e32 v[148:149], v[156:157], v[244:245]
	v_add_f64_e64 v[156:157], v[175:176], -v[183:184]
	v_add_f64_e64 v[175:176], v[191:192], -v[187:188]
	;; [unrolled: 1-line block ×7, first 2 shown]
	v_add_f64_e32 v[150:151], v[158:159], v[252:253]
	v_add_f64_e64 v[158:159], v[177:178], -v[185:186]
	v_add_f64_e64 v[177:178], v[193:194], -v[189:190]
	;; [unrolled: 1-line block ×4, first 2 shown]
	v_add_f64_e32 v[156:157], v[175:176], v[156:157]
	v_add_f64_e64 v[185:186], v[229:230], -v[223:224]
	v_add_f64_e64 v[175:176], v[171:172], -v[175:176]
	;; [unrolled: 1-line block ×4, first 2 shown]
	v_mul_f64_e32 v[189:190], s[28:29], v[160:161]
	v_add_f64_e32 v[158:159], v[177:178], v[158:159]
	v_add_f64_e32 v[193:194], v[156:157], v[171:172]
	v_add_f64_e64 v[177:178], v[173:174], -v[177:178]
	s_wait_alu 0xfffe
	v_mul_f64_e32 v[171:172], s[14:15], v[179:180]
	v_mul_f64_e32 v[156:157], s[10:11], v[183:184]
	;; [unrolled: 1-line block ×3, first 2 shown]
	v_fma_f64 v[160:161], v[179:180], s[14:15], -v[189:190]
	v_add_f64_e32 v[223:224], v[158:159], v[173:174]
	v_mul_f64_e32 v[173:174], s[14:15], v[181:182]
	v_mul_f64_e32 v[158:159], s[10:11], v[185:186]
	v_mul_f64_e32 v[179:180], s[18:19], v[164:165]
	v_fma_f64 v[164:165], v[175:176], s[24:25], -v[171:172]
	v_fma_f64 v[175:176], v[175:176], s[22:23], v[189:190]
	v_fma_f64 v[156:157], v[166:167], s[30:31], -v[156:157]
	v_fma_f64 v[162:163], v[193:194], s[12:13], v[160:161]
	v_fma_f64 v[160:161], v[181:182], s[14:15], -v[191:192]
	v_mul_f64_e32 v[181:182], s[18:19], v[217:218]
	v_fma_f64 v[171:172], v[177:178], s[24:25], -v[173:174]
	v_fma_f64 v[158:159], v[187:188], s[30:31], -v[158:159]
	;; [unrolled: 1-line block ×3, first 2 shown]
	v_fma_f64 v[177:178], v[177:178], s[22:23], v[191:192]
	v_fma_f64 v[179:180], v[183:184], s[10:11], v[179:180]
	;; [unrolled: 1-line block ×3, first 2 shown]
	v_add_f64_e32 v[225:226], v[156:157], v[219:220]
	v_fma_f64 v[160:161], v[223:224], s[12:13], v[160:161]
	v_fma_f64 v[173:174], v[187:188], s[20:21], -v[181:182]
	v_fma_f64 v[181:182], v[185:186], s[10:11], v[181:182]
	v_fma_f64 v[187:188], v[193:194], s[12:13], v[164:165]
	v_add_f64_e32 v[217:218], v[166:167], v[219:220]
	v_fma_f64 v[177:178], v[223:224], s[12:13], v[177:178]
	v_add_f64_e32 v[179:180], v[179:180], v[219:220]
	v_add_f64_e64 v[192:193], v[195:196], -v[203:204]
	v_add_f64_e64 v[196:197], v[197:198], -v[205:206]
	v_fma_f64 v[171:172], v[223:224], s[12:13], v[171:172]
	v_add_f64_e64 v[194:195], v[215:216], -v[211:212]
	v_add_f64_e64 v[204:205], v[235:236], -v[233:234]
	v_add_f64_e32 v[237:238], v[158:159], v[231:232]
	v_fma_f64 v[220:221], v[252:253], s[26:27], v[150:151]
	v_add_f64_e64 v[156:157], v[225:226], -v[160:161]
	v_add_f64_e32 v[173:174], v[173:174], v[231:232]
	v_add_f64_e32 v[181:182], v[181:182], v[231:232]
	;; [unrolled: 1-line block ×5, first 2 shown]
	v_add_f64_e64 v[171:172], v[217:218], -v[171:172]
	v_fma_f64 v[218:219], v[244:245], s[26:27], v[148:149]
	v_add_f64_e32 v[158:159], v[162:163], v[237:238]
	v_add_f64_e64 v[162:163], v[237:238], -v[162:163]
	v_add_f64_e64 v[166:167], v[173:174], -v[187:188]
	v_add_f64_e32 v[173:174], v[187:188], v[173:174]
	v_add_f64_e64 v[186:187], v[181:182], -v[175:176]
	v_add_f64_e32 v[190:191], v[175:176], v[181:182]
	v_add_f64_e64 v[175:176], v[199:200], -v[207:208]
	v_add_f64_e64 v[188:189], v[179:180], -v[177:178]
	;; [unrolled: 1-line block ×8, first 2 shown]
	v_add_f64_e32 v[175:176], v[168:169], v[175:176]
	v_add_f64_e64 v[181:182], v[194:195], -v[177:178]
	v_add_f64_e64 v[200:201], v[177:178], -v[196:197]
	v_add_f64_e32 v[177:178], v[194:195], v[177:178]
	v_mul_f64_e32 v[210:211], s[28:29], v[179:180]
	v_add_f64_e32 v[214:215], v[175:176], v[192:193]
	v_mul_f64_e32 v[175:176], s[10:11], v[202:203]
	v_mul_f64_e32 v[212:213], s[28:29], v[181:182]
	v_add_f64_e32 v[216:217], v[177:178], v[196:197]
	v_mul_f64_e32 v[177:178], s[10:11], v[206:207]
	v_fma_f64 v[179:180], v[198:199], s[14:15], -v[210:211]
	v_fma_f64 v[175:176], v[204:205], s[30:31], -v[175:176]
	s_delay_alu instid0(VALU_DEP_3) | instskip(NEXT) | instid1(VALU_DEP_3)
	v_fma_f64 v[177:178], v[208:209], s[30:31], -v[177:178]
	v_fma_f64 v[182:183], v[214:215], s[12:13], v[179:180]
	v_fma_f64 v[179:180], v[200:201], s[14:15], -v[212:213]
	s_delay_alu instid0(VALU_DEP_4) | instskip(SKIP_3) | instid1(VALU_DEP_2)
	v_add_f64_e32 v[222:223], v[175:176], v[218:219]
	s_wait_alu 0xf1ff
	v_cndmask_b32_e64 v175, 0, 0x13b, s1
	v_add_f64_e32 v[224:225], v[177:178], v[220:221]
	v_add_lshl_u32 v241, v170, v175, 4
	ds_store_b128 v241, v[152:155]
	ds_store_b128 v241, v[184:187] offset:720
	ds_store_b128 v241, v[164:167] offset:1440
	;; [unrolled: 1-line block ×6, first 2 shown]
	v_add_f64_e64 v[152:153], v[233:234], -v[242:243]
	v_add_f64_e64 v[154:155], v[246:247], -v[250:251]
	;; [unrolled: 1-line block ×3, first 2 shown]
	v_mul_f64_e32 v[160:161], s[14:15], v[198:199]
	v_add_f64_e64 v[158:159], v[196:197], -v[194:195]
	v_fma_f64 v[180:181], v[216:217], s[12:13], v[179:180]
	v_add_f64_e32 v[178:179], v[182:183], v[224:225]
	v_add_f64_e64 v[182:183], v[224:225], -v[182:183]
	v_mul_f64_e32 v[152:153], s[18:19], v[152:153]
	v_fma_f64 v[162:163], v[156:157], s[22:23], v[210:211]
	v_fma_f64 v[156:157], v[156:157], s[24:25], -v[160:161]
	v_mul_f64_e32 v[160:161], s[14:15], v[200:201]
	v_fma_f64 v[166:167], v[158:159], s[22:23], v[212:213]
	v_add_f64_e64 v[176:177], v[222:223], -v[180:181]
	v_add_f64_e32 v[180:181], v[180:181], v[222:223]
	v_fma_f64 v[168:169], v[204:205], s[20:21], -v[152:153]
	v_fma_f64 v[170:171], v[202:203], s[10:11], v[152:153]
	v_mul_f64_e32 v[152:153], s[18:19], v[154:155]
	v_fma_f64 v[164:165], v[214:215], s[12:13], v[156:157]
	v_fma_f64 v[160:161], v[158:159], s[24:25], -v[160:161]
	v_fma_f64 v[158:159], v[214:215], s[12:13], v[162:163]
	v_add_f64_e32 v[156:157], v[168:169], v[218:219]
	v_fma_f64 v[172:173], v[208:209], s[20:21], -v[152:153]
	v_fma_f64 v[174:175], v[206:207], s[10:11], v[152:153]
	v_fma_f64 v[152:153], v[216:217], s[12:13], v[166:167]
	;; [unrolled: 1-line block ×3, first 2 shown]
	v_add_f64_e32 v[160:161], v[170:171], v[218:219]
	v_add_f64_e32 v[166:167], v[172:173], v[220:221]
	;; [unrolled: 1-line block ×3, first 2 shown]
	s_delay_alu instid0(VALU_DEP_4) | instskip(NEXT) | instid1(VALU_DEP_4)
	v_add_f64_e64 v[168:169], v[156:157], -v[154:155]
	v_add_f64_e64 v[172:173], v[160:161], -v[152:153]
	s_delay_alu instid0(VALU_DEP_4) | instskip(NEXT) | instid1(VALU_DEP_4)
	v_add_f64_e32 v[170:171], v[164:165], v[166:167]
	v_add_f64_e32 v[174:175], v[158:159], v[162:163]
	s_and_saveexec_b32 s1, s0
	s_cbranch_execz .LBB0_15
; %bb.14:
	v_add_f64_e32 v[184:185], v[152:153], v[160:161]
	scratch_load_b32 v152, off, off offset:24 ; 4-byte Folded Reload
	v_add_f64_e64 v[186:187], v[162:163], -v[158:159]
	v_add_f64_e64 v[164:165], v[166:167], -v[164:165]
	v_add_f64_e32 v[162:163], v[154:155], v[156:157]
	s_wait_loadcnt 0x0
	v_lshlrev_b32_e32 v152, 4, v152
	ds_store_b128 v152, v[180:183] offset:7920
	ds_store_b128 v152, v[168:171] offset:8640
	ds_store_b128 v152, v[148:151] offset:5040
	ds_store_b128 v152, v[184:187] offset:5760
	ds_store_b128 v152, v[162:165] offset:6480
	ds_store_b128 v152, v[176:179] offset:7200
	ds_store_b128 v152, v[172:175] offset:9360
.LBB0_15:
	s_wait_alu 0xfffe
	s_or_b32 exec_lo, exec_lo, s1
	global_wb scope:SCOPE_SE
	s_wait_dscnt 0x0
	s_barrier_signal -1
	s_barrier_wait -1
	global_inv scope:SCOPE_SE
	s_clause 0x3
	global_load_b128 v[148:151], v227, s[2:3] offset:4992
	global_load_b128 v[152:155], v227, s[2:3] offset:6000
	;; [unrolled: 1-line block ×4, first 2 shown]
	ds_load_b128 v[164:167], v227 offset:5040
	ds_load_b128 v[188:191], v227 offset:4032
	;; [unrolled: 1-line block ×4, first 2 shown]
	s_wait_loadcnt_dscnt 0x303
	v_mul_f64_e32 v[196:197], v[166:167], v[150:151]
	v_mul_f64_e32 v[198:199], v[164:165], v[150:151]
	s_wait_loadcnt_dscnt 0x201
	v_mul_f64_e32 v[200:201], v[186:187], v[154:155]
	v_mul_f64_e32 v[202:203], v[184:185], v[154:155]
	;; [unrolled: 3-line block ×3, first 2 shown]
	v_fma_f64 v[196:197], v[164:165], v[148:149], -v[196:197]
	v_fma_f64 v[198:199], v[166:167], v[148:149], v[198:199]
	ds_load_b128 v[164:167], v227 offset:8064
	v_fma_f64 v[208:209], v[184:185], v[152:153], -v[200:201]
	v_fma_f64 v[210:211], v[186:187], v[152:153], v[202:203]
	ds_load_b128 v[184:187], v227 offset:9072
	v_fma_f64 v[212:213], v[192:193], v[156:157], -v[204:205]
	v_fma_f64 v[214:215], v[194:195], v[156:157], v[206:207]
	s_wait_loadcnt_dscnt 0x1
	v_mul_f64_e32 v[192:193], v[166:167], v[162:163]
	s_delay_alu instid0(VALU_DEP_1) | instskip(SKIP_1) | instid1(VALU_DEP_1)
	v_fma_f64 v[220:221], v[164:165], v[160:161], -v[192:193]
	v_mul_f64_e32 v[164:165], v[164:165], v[162:163]
	v_fma_f64 v[222:223], v[166:167], v[160:161], v[164:165]
	global_load_b128 v[164:167], v227, s[2:3] offset:9024
	s_add_nc_u64 s[2:3], s[16:17], 0x2760
	s_wait_loadcnt_dscnt 0x0
	v_mul_f64_e32 v[192:193], v[186:187], v[166:167]
	s_delay_alu instid0(VALU_DEP_1) | instskip(SKIP_1) | instid1(VALU_DEP_1)
	v_fma_f64 v[224:225], v[184:185], v[164:165], -v[192:193]
	v_mul_f64_e32 v[184:185], v[184:185], v[166:167]
	v_fma_f64 v[229:230], v[186:187], v[164:165], v[184:185]
	ds_load_b128 v[184:187], v227
	ds_load_b128 v[192:195], v227 offset:1008
	s_wait_dscnt 0x1
	v_add_f64_e64 v[196:197], v[184:185], -v[196:197]
	v_add_f64_e64 v[198:199], v[186:187], -v[198:199]
	s_wait_dscnt 0x0
	v_add_f64_e64 v[204:205], v[192:193], -v[208:209]
	v_add_f64_e64 v[206:207], v[194:195], -v[210:211]
	s_delay_alu instid0(VALU_DEP_4) | instskip(NEXT) | instid1(VALU_DEP_4)
	v_fma_f64 v[200:201], v[184:185], 2.0, -v[196:197]
	v_fma_f64 v[202:203], v[186:187], 2.0, -v[198:199]
	ds_load_b128 v[184:187], v227 offset:2016
	ds_load_b128 v[208:211], v227 offset:3024
	v_fma_f64 v[192:193], v[192:193], 2.0, -v[204:205]
	v_fma_f64 v[194:195], v[194:195], 2.0, -v[206:207]
	s_wait_dscnt 0x1
	v_add_f64_e64 v[212:213], v[184:185], -v[212:213]
	v_add_f64_e64 v[214:215], v[186:187], -v[214:215]
	s_wait_dscnt 0x0
	v_add_f64_e64 v[220:221], v[208:209], -v[220:221]
	v_add_f64_e64 v[222:223], v[210:211], -v[222:223]
	s_delay_alu instid0(VALU_DEP_4) | instskip(NEXT) | instid1(VALU_DEP_4)
	v_fma_f64 v[216:217], v[184:185], 2.0, -v[212:213]
	v_fma_f64 v[218:219], v[186:187], 2.0, -v[214:215]
	v_add_f64_e64 v[184:185], v[188:189], -v[224:225]
	v_add_f64_e64 v[186:187], v[190:191], -v[229:230]
	v_fma_f64 v[208:209], v[208:209], 2.0, -v[220:221]
	v_fma_f64 v[210:211], v[210:211], 2.0, -v[222:223]
	s_delay_alu instid0(VALU_DEP_4) | instskip(NEXT) | instid1(VALU_DEP_4)
	v_fma_f64 v[188:189], v[188:189], 2.0, -v[184:185]
	v_fma_f64 v[190:191], v[190:191], 2.0, -v[186:187]
	ds_store_b128 v227, v[204:207] offset:6048
	ds_store_b128 v227, v[212:215] offset:7056
	ds_store_b128 v227, v[200:203]
	ds_store_b128 v227, v[192:195] offset:1008
	ds_store_b128 v227, v[220:223] offset:8064
	ds_store_b128 v227, v[184:187] offset:9072
	ds_store_b128 v227, v[216:219] offset:2016
	ds_store_b128 v227, v[208:211] offset:3024
	ds_store_b128 v227, v[196:199] offset:5040
	ds_store_b128 v227, v[188:191] offset:4032
	global_wb scope:SCOPE_SE
	s_wait_dscnt 0x0
	s_barrier_signal -1
	s_barrier_wait -1
	global_inv scope:SCOPE_SE
	global_load_b128 v[188:191], v[254:255], off offset:10080
	ds_load_b128 v[192:195], v227
	ds_load_b128 v[196:199], v227 offset:1008
	s_clause 0x2
	global_load_b128 v[216:219], v227, s[2:3] offset:6720
	global_load_b128 v[242:245], v227, s[2:3] offset:7728
	;; [unrolled: 1-line block ×3, first 2 shown]
	ds_load_b128 v[229:232], v227 offset:8736
	ds_load_b128 v[204:207], v227 offset:3360
	;; [unrolled: 1-line block ×5, first 2 shown]
	global_load_b128 v[208:211], v227, s[2:3] offset:2016
	s_wait_loadcnt_dscnt 0x406
	v_mul_f64_e32 v[200:201], v[194:195], v[190:191]
	v_mul_f64_e32 v[202:203], v[192:193], v[190:191]
	s_delay_alu instid0(VALU_DEP_2) | instskip(NEXT) | instid1(VALU_DEP_2)
	v_fma_f64 v[190:191], v[192:193], v[188:189], -v[200:201]
	v_fma_f64 v[192:193], v[194:195], v[188:189], v[202:203]
	global_load_b128 v[200:203], v227, s[2:3] offset:3360
	s_wait_loadcnt_dscnt 0x3
	v_mul_f64_e32 v[188:189], v[206:207], v[202:203]
	v_mul_f64_e32 v[194:195], v[204:205], v[202:203]
	s_delay_alu instid0(VALU_DEP_2) | instskip(SKIP_2) | instid1(VALU_DEP_3)
	v_fma_f64 v[202:203], v[204:205], v[200:201], -v[188:189]
	s_wait_dscnt 0x1
	v_mul_f64_e32 v[188:189], v[222:223], v[218:219]
	v_fma_f64 v[204:205], v[206:207], v[200:201], v[194:195]
	v_mul_f64_e32 v[194:195], v[220:221], v[218:219]
	v_mul_f64_e32 v[200:201], v[196:197], v[252:253]
	s_delay_alu instid0(VALU_DEP_4) | instskip(SKIP_1) | instid1(VALU_DEP_4)
	v_fma_f64 v[218:219], v[220:221], v[216:217], -v[188:189]
	v_mul_f64_e32 v[188:189], v[198:199], v[252:253]
	v_fma_f64 v[220:221], v[222:223], v[216:217], v[194:195]
	s_delay_alu instid0(VALU_DEP_2)
	v_fma_f64 v[194:195], v[196:197], v[250:251], -v[188:189]
	v_fma_f64 v[196:197], v[198:199], v[250:251], v[200:201]
	s_clause 0x1
	global_load_b128 v[198:201], v227, s[2:3] offset:4368
	global_load_b128 v[250:253], v227, s[2:3] offset:5376
	ds_load_b128 v[233:236], v227 offset:4368
	ds_load_b128 v[222:225], v227 offset:5376
	s_wait_loadcnt_dscnt 0x101
	v_mul_f64_e32 v[188:189], v[235:236], v[200:201]
	v_mul_f64_e32 v[200:201], v[233:234], v[200:201]
	s_delay_alu instid0(VALU_DEP_2) | instskip(SKIP_1) | instid1(VALU_DEP_3)
	v_fma_f64 v[233:234], v[233:234], v[198:199], -v[188:189]
	v_mul_f64_e32 v[188:189], v[248:249], v[244:245]
	v_fma_f64 v[235:236], v[235:236], v[198:199], v[200:201]
	v_mul_f64_e32 v[200:201], v[246:247], v[244:245]
	s_delay_alu instid0(VALU_DEP_3) | instskip(SKIP_2) | instid1(VALU_DEP_4)
	v_fma_f64 v[198:199], v[246:247], v[242:243], -v[188:189]
	v_mul_f64_e32 v[188:189], v[214:215], v[210:211]
	v_mul_f64_e32 v[210:211], v[212:213], v[210:211]
	v_fma_f64 v[200:201], v[248:249], v[242:243], v[200:201]
	s_delay_alu instid0(VALU_DEP_3) | instskip(NEXT) | instid1(VALU_DEP_3)
	v_fma_f64 v[206:207], v[212:213], v[208:209], -v[188:189]
	v_fma_f64 v[208:209], v[214:215], v[208:209], v[210:211]
	global_load_b128 v[214:217], v227, s[2:3] offset:8736
	s_wait_loadcnt_dscnt 0x100
	v_mul_f64_e32 v[188:189], v[224:225], v[252:253]
	v_mul_f64_e32 v[212:213], v[222:223], v[252:253]
	s_delay_alu instid0(VALU_DEP_2) | instskip(NEXT) | instid1(VALU_DEP_2)
	v_fma_f64 v[210:211], v[222:223], v[250:251], -v[188:189]
	v_fma_f64 v[212:213], v[224:225], v[250:251], v[212:213]
	s_wait_loadcnt 0x0
	v_mul_f64_e32 v[188:189], v[231:232], v[216:217]
	v_mul_f64_e32 v[216:217], v[229:230], v[216:217]
	s_delay_alu instid0(VALU_DEP_2) | instskip(NEXT) | instid1(VALU_DEP_2)
	v_fma_f64 v[222:223], v[229:230], v[214:215], -v[188:189]
	v_fma_f64 v[224:225], v[231:232], v[214:215], v[216:217]
	ds_store_b128 v227, v[190:193]
	ds_store_b128 v227, v[194:197] offset:1008
	ds_store_b128 v227, v[218:221] offset:6720
	;; [unrolled: 1-line block ×8, first 2 shown]
	s_and_saveexec_b32 s1, vcc_lo
	s_cbranch_execz .LBB0_17
; %bb.16:
	s_wait_alu 0xfffe
	v_add_co_u32 v196, s2, s2, v227
	s_wait_alu 0xf1ff
	v_add_co_ci_u32_e64 v197, null, s3, 0, s2
	s_clause 0x2
	global_load_b128 v[188:191], v[196:197], off offset:3024
	global_load_b128 v[192:195], v[196:197], off offset:6384
	;; [unrolled: 1-line block ×3, first 2 shown]
	ds_load_b128 v[200:203], v227 offset:3024
	ds_load_b128 v[204:207], v227 offset:6384
	;; [unrolled: 1-line block ×3, first 2 shown]
	s_wait_loadcnt_dscnt 0x202
	v_mul_f64_e32 v[212:213], v[202:203], v[190:191]
	v_mul_f64_e32 v[190:191], v[200:201], v[190:191]
	s_wait_loadcnt_dscnt 0x101
	v_mul_f64_e32 v[214:215], v[206:207], v[194:195]
	v_mul_f64_e32 v[194:195], v[204:205], v[194:195]
	;; [unrolled: 3-line block ×3, first 2 shown]
	v_fma_f64 v[198:199], v[200:201], v[188:189], -v[212:213]
	v_fma_f64 v[200:201], v[202:203], v[188:189], v[190:191]
	v_fma_f64 v[188:189], v[204:205], v[192:193], -v[214:215]
	v_fma_f64 v[190:191], v[206:207], v[192:193], v[194:195]
	;; [unrolled: 2-line block ×3, first 2 shown]
	ds_store_b128 v227, v[198:201] offset:3024
	ds_store_b128 v227, v[188:191] offset:6384
	;; [unrolled: 1-line block ×3, first 2 shown]
.LBB0_17:
	s_wait_alu 0xfffe
	s_or_b32 exec_lo, exec_lo, s1
	global_wb scope:SCOPE_SE
	s_wait_dscnt 0x0
	s_barrier_signal -1
	s_barrier_wait -1
	global_inv scope:SCOPE_SE
	ds_load_b128 v[196:199], v227
	ds_load_b128 v[188:191], v227 offset:1008
	ds_load_b128 v[216:219], v227 offset:6720
	ds_load_b128 v[208:211], v227 offset:7728
	ds_load_b128 v[220:223], v227 offset:3360
	ds_load_b128 v[192:195], v227 offset:2016
	ds_load_b128 v[212:215], v227 offset:4368
	ds_load_b128 v[204:207], v227 offset:5376
	ds_load_b128 v[200:203], v227 offset:8736
	s_and_saveexec_b32 s1, vcc_lo
	s_cbranch_execz .LBB0_19
; %bb.18:
	ds_load_b128 v[184:187], v227 offset:3024
	ds_load_b128 v[176:179], v227 offset:6384
	;; [unrolled: 1-line block ×3, first 2 shown]
.LBB0_19:
	s_wait_alu 0xfffe
	s_or_b32 exec_lo, exec_lo, s1
	s_wait_dscnt 0x4
	v_add_f64_e32 v[224:225], v[196:197], v[220:221]
	v_add_f64_e32 v[229:230], v[198:199], v[222:223]
	;; [unrolled: 1-line block ×3, first 2 shown]
	v_add_f64_e64 v[220:221], v[220:221], -v[216:217]
	v_add_f64_e32 v[233:234], v[222:223], v[218:219]
	v_add_f64_e64 v[222:223], v[222:223], -v[218:219]
	s_wait_dscnt 0x2
	v_add_f64_e32 v[235:236], v[212:213], v[208:209]
	v_add_f64_e32 v[237:238], v[214:215], v[210:211]
	s_wait_dscnt 0x0
	v_add_f64_e32 v[242:243], v[204:205], v[200:201]
	v_add_f64_e32 v[244:245], v[206:207], v[202:203]
	v_add_f64_e64 v[246:247], v[206:207], -v[202:203]
	v_add_f64_e64 v[248:249], v[204:205], -v[200:201]
	;; [unrolled: 1-line block ×3, first 2 shown]
	s_mov_b32 s2, 0xe8584caa
	s_mov_b32 s3, 0xbfebb67a
	;; [unrolled: 1-line block ×3, first 2 shown]
	s_wait_alu 0xfffe
	s_mov_b32 s10, s2
	v_add_f64_e64 v[252:253], v[176:177], -v[180:181]
	global_wb scope:SCOPE_SE
	s_barrier_signal -1
	s_barrier_wait -1
	global_inv scope:SCOPE_SE
	v_add_f64_e32 v[216:217], v[224:225], v[216:217]
	v_add_f64_e32 v[224:225], v[188:189], v[212:213]
	;; [unrolled: 1-line block ×4, first 2 shown]
	v_add_f64_e64 v[212:213], v[212:213], -v[208:209]
	v_add_f64_e64 v[214:215], v[214:215], -v[210:211]
	v_add_f64_e32 v[208:209], v[224:225], v[208:209]
	v_add_f64_e32 v[224:225], v[192:193], v[204:205]
	;; [unrolled: 1-line block ×6, first 2 shown]
	v_fma_f64 v[192:193], v[242:243], -0.5, v[192:193]
	v_fma_f64 v[194:195], v[244:245], -0.5, v[194:195]
	v_add_f64_e32 v[200:201], v[224:225], v[200:201]
	v_add_f64_e32 v[224:225], v[176:177], v[180:181]
	;; [unrolled: 1-line block ×5, first 2 shown]
	v_fma_f64 v[182:183], v[231:232], -0.5, v[196:197]
	v_fma_f64 v[196:197], v[233:234], -0.5, v[198:199]
	;; [unrolled: 1-line block ×3, first 2 shown]
	v_add_f64_e32 v[176:177], v[204:205], v[180:181]
	v_fma_f64 v[198:199], v[235:236], -0.5, v[188:189]
	v_fma_f64 v[224:225], v[224:225], -0.5, v[184:185]
	;; [unrolled: 1-line block ×3, first 2 shown]
	v_fma_f64 v[180:181], v[222:223], s[2:3], v[182:183]
	s_wait_alu 0xfffe
	v_fma_f64 v[184:185], v[222:223], s[10:11], v[182:183]
	v_fma_f64 v[182:183], v[220:221], s[10:11], v[196:197]
	;; [unrolled: 1-line block ×13, first 2 shown]
	scratch_load_b32 v224, off, off offset:16 th:TH_LOAD_LU ; 4-byte Folded Reload
	v_fma_f64 v[194:195], v[252:253], s[10:11], v[229:230]
	v_fma_f64 v[198:199], v[252:253], s[2:3], v[229:230]
	s_wait_loadcnt 0x0
	ds_store_b128 v224, v[216:219]
	ds_store_b128 v224, v[180:183] offset:16
	ds_store_b128 v224, v[184:187] offset:32
	scratch_load_b32 v180, off, off offset:20 th:TH_LOAD_LU ; 4-byte Folded Reload
	s_wait_loadcnt 0x0
	ds_store_b128 v180, v[208:211]
	ds_store_b128 v180, v[188:191] offset:16
	ds_store_b128 v180, v[204:207] offset:32
	scratch_load_b32 v180, off, off offset:12 th:TH_LOAD_LU ; 4-byte Folded Reload
	s_wait_loadcnt 0x0
	ds_store_b128 v180, v[200:203]
	ds_store_b128 v180, v[212:215] offset:16
	ds_store_b128 v180, v[220:223] offset:32
	s_and_saveexec_b32 s1, vcc_lo
	s_cbranch_execz .LBB0_21
; %bb.20:
	scratch_load_b32 v180, off, off offset:44 th:TH_LOAD_LU ; 4-byte Folded Reload
	s_wait_loadcnt 0x0
	v_lshlrev_b32_e32 v180, 4, v180
	ds_store_b128 v180, v[176:179]
	ds_store_b128 v180, v[192:195] offset:16
	ds_store_b128 v180, v[196:199] offset:32
.LBB0_21:
	s_wait_alu 0xfffe
	s_or_b32 exec_lo, exec_lo, s1
	global_wb scope:SCOPE_SE
	s_wait_dscnt 0x0
	s_barrier_signal -1
	s_barrier_wait -1
	global_inv scope:SCOPE_SE
	ds_load_b128 v[184:187], v227
	ds_load_b128 v[180:183], v227 offset:1008
	ds_load_b128 v[212:215], v227 offset:6720
	;; [unrolled: 1-line block ×8, first 2 shown]
	s_and_saveexec_b32 s1, vcc_lo
	s_cbranch_execz .LBB0_23
; %bb.22:
	ds_load_b128 v[176:179], v227 offset:3024
	ds_load_b128 v[192:195], v227 offset:6384
	;; [unrolled: 1-line block ×3, first 2 shown]
.LBB0_23:
	s_wait_alu 0xfffe
	s_or_b32 exec_lo, exec_lo, s1
	s_wait_dscnt 0x4
	v_mul_f64_e32 v[224:225], v[50:51], v[222:223]
	v_mul_f64_e32 v[229:230], v[46:47], v[214:215]
	;; [unrolled: 1-line block ×4, first 2 shown]
	s_wait_dscnt 0x2
	v_mul_f64_e32 v[231:232], v[58:59], v[218:219]
	v_mul_f64_e32 v[233:234], v[54:55], v[202:203]
	;; [unrolled: 1-line block ×4, first 2 shown]
	s_wait_dscnt 0x1
	v_mul_f64_e32 v[235:236], v[42:43], v[206:207]
	v_mul_f64_e32 v[42:43], v[42:43], v[204:205]
	s_wait_dscnt 0x0
	v_mul_f64_e32 v[244:245], v[62:63], v[198:199]
	v_mul_f64_e32 v[62:63], v[62:63], v[196:197]
	global_wb scope:SCOPE_SE
	s_barrier_signal -1
	s_barrier_wait -1
	global_inv scope:SCOPE_SE
	v_mul_f64_e32 v[237:238], v[38:39], v[210:211]
	v_mul_f64_e32 v[38:39], v[38:39], v[208:209]
	;; [unrolled: 1-line block ×4, first 2 shown]
	s_mov_b32 s10, s2
	v_fma_f64 v[220:221], v[48:49], v[220:221], v[224:225]
	v_fma_f64 v[212:213], v[44:45], v[212:213], v[229:230]
	v_fma_f64 v[222:223], v[48:49], v[222:223], -v[50:51]
	v_fma_f64 v[214:215], v[44:45], v[214:215], -v[46:47]
	v_fma_f64 v[216:217], v[56:57], v[216:217], v[231:232]
	v_fma_f64 v[200:201], v[52:53], v[200:201], v[233:234]
	v_fma_f64 v[56:57], v[56:57], v[218:219], -v[58:59]
	v_fma_f64 v[58:59], v[52:53], v[202:203], -v[54:55]
	v_fma_f64 v[52:53], v[40:41], v[204:205], v[235:236]
	v_fma_f64 v[40:41], v[40:41], v[206:207], -v[42:43]
	v_fma_f64 v[44:45], v[60:61], v[196:197], v[244:245]
	;; [unrolled: 2-line block ×4, first 2 shown]
	v_fma_f64 v[50:51], v[64:65], v[194:195], -v[66:67]
	v_add_f64_e32 v[194:195], v[184:185], v[220:221]
	v_add_f64_e32 v[38:39], v[220:221], v[212:213]
	;; [unrolled: 1-line block ×8, first 2 shown]
	v_add_f64_e64 v[216:217], v[216:217], -v[200:201]
	v_add_f64_e64 v[196:197], v[222:223], -v[214:215]
	v_add_f64_e32 v[208:209], v[188:189], v[52:53]
	v_add_f64_e32 v[210:211], v[190:191], v[40:41]
	;; [unrolled: 1-line block ×5, first 2 shown]
	v_add_f64_e64 v[224:225], v[52:53], -v[202:203]
	v_add_f64_e32 v[192:193], v[50:51], v[48:49]
	v_add_f64_e64 v[40:41], v[40:41], -v[36:37]
	v_add_f64_e64 v[231:232], v[50:51], -v[48:49]
	;; [unrolled: 1-line block ×3, first 2 shown]
	v_add_f64_e32 v[52:53], v[194:195], v[212:213]
	v_fma_f64 v[38:39], v[38:39], -0.5, v[184:185]
	v_add_f64_e64 v[184:185], v[220:221], -v[212:213]
	v_fma_f64 v[42:43], v[42:43], -0.5, v[186:187]
	v_add_f64_e64 v[186:187], v[56:57], -v[58:59]
	v_add_f64_e32 v[56:57], v[204:205], v[200:201]
	scratch_load_b32 v200, off, off offset:40 th:TH_LOAD_LU ; 4-byte Folded Reload
	v_fma_f64 v[218:219], v[54:55], -0.5, v[180:181]
	v_add_f64_e32 v[54:55], v[198:199], v[214:215]
	v_fma_f64 v[220:221], v[60:61], -0.5, v[182:183]
	v_add_f64_e32 v[58:59], v[206:207], v[58:59]
	v_add_f64_e32 v[60:61], v[208:209], v[202:203]
	v_fma_f64 v[222:223], v[62:63], -0.5, v[188:189]
	v_fma_f64 v[229:230], v[64:65], -0.5, v[190:191]
	;; [unrolled: 1-line block ×3, first 2 shown]
	v_add_f64_e32 v[62:63], v[210:211], v[36:37]
	v_fma_f64 v[237:238], v[192:193], -0.5, v[178:179]
	v_fma_f64 v[64:65], v[196:197], s[2:3], v[38:39]
	s_wait_alu 0xfffe
	v_fma_f64 v[180:181], v[196:197], s[10:11], v[38:39]
	v_fma_f64 v[66:67], v[184:185], s[10:11], v[42:43]
	v_fma_f64 v[182:183], v[184:185], s[2:3], v[42:43]
	s_wait_loadcnt 0x0
	ds_store_b128 v200, v[52:55]
	ds_store_b128 v200, v[64:67] offset:48
	ds_store_b128 v200, v[180:183] offset:96
	scratch_load_b32 v52, off, off offset:36 th:TH_LOAD_LU ; 4-byte Folded Reload
	v_fma_f64 v[184:185], v[186:187], s[2:3], v[218:219]
	v_fma_f64 v[188:189], v[186:187], s[10:11], v[218:219]
	;; [unrolled: 1-line block ×12, first 2 shown]
	s_wait_loadcnt 0x0
	ds_store_b128 v52, v[56:59]
	ds_store_b128 v52, v[184:187] offset:48
	ds_store_b128 v52, v[188:191] offset:96
	scratch_load_b32 v52, off, off offset:32 th:TH_LOAD_LU ; 4-byte Folded Reload
	s_wait_loadcnt 0x0
	ds_store_b128 v52, v[60:63]
	ds_store_b128 v52, v[192:195] offset:48
	ds_store_b128 v52, v[196:199] offset:96
	s_and_saveexec_b32 s1, vcc_lo
	s_cbranch_execz .LBB0_25
; %bb.24:
	v_add_f64_e32 v[50:51], v[178:179], v[50:51]
	v_add_f64_e32 v[52:53], v[176:177], v[46:47]
	s_delay_alu instid0(VALU_DEP_2)
	v_add_f64_e32 v[46:47], v[50:51], v[48:49]
	s_clause 0x1
	scratch_load_b32 v48, off, off offset:28 th:TH_LOAD_LU
	scratch_load_b32 v49, off, off offset:8 th:TH_LOAD_LU
	v_add_f64_e32 v[44:45], v[52:53], v[44:45]
	s_wait_loadcnt 0x1
	v_mul_u32_u24_e32 v48, 9, v48
	s_wait_loadcnt 0x0
	s_delay_alu instid0(VALU_DEP_1)
	v_add_lshl_u32 v48, v48, v49, 4
	ds_store_b128 v48, v[44:47]
	ds_store_b128 v48, v[36:39] offset:48
	ds_store_b128 v48, v[40:43] offset:96
.LBB0_25:
	s_wait_alu 0xfffe
	s_or_b32 exec_lo, exec_lo, s1
	global_wb scope:SCOPE_SE
	s_wait_dscnt 0x0
	s_barrier_signal -1
	s_barrier_wait -1
	global_inv scope:SCOPE_SE
	ds_load_b128 v[44:47], v227 offset:2016
	ds_load_b128 v[48:51], v227 offset:4032
	;; [unrolled: 1-line block ×8, first 2 shown]
	s_mov_b32 s2, 0x134454ff
	s_mov_b32 s3, 0xbfee6f0e
	;; [unrolled: 1-line block ×3, first 2 shown]
	s_wait_alu 0xfffe
	s_mov_b32 s10, s2
	s_wait_dscnt 0x7
	v_mul_f64_e32 v[184:185], v[82:83], v[46:47]
	s_wait_dscnt 0x6
	v_mul_f64_e32 v[186:187], v[74:75], v[50:51]
	;; [unrolled: 2-line block ×3, first 2 shown]
	v_mul_f64_e32 v[74:75], v[74:75], v[48:49]
	v_mul_f64_e32 v[70:71], v[70:71], v[52:53]
	;; [unrolled: 1-line block ×3, first 2 shown]
	s_wait_dscnt 0x4
	v_mul_f64_e32 v[190:191], v[78:79], v[58:59]
	v_mul_f64_e32 v[78:79], v[78:79], v[56:57]
	s_wait_dscnt 0x2
	v_mul_f64_e32 v[194:195], v[98:99], v[66:67]
	s_wait_dscnt 0x1
	v_mul_f64_e32 v[196:197], v[94:95], v[178:179]
	v_mul_f64_e32 v[98:99], v[98:99], v[64:65]
	;; [unrolled: 1-line block ×4, first 2 shown]
	s_wait_dscnt 0x0
	v_mul_f64_e32 v[198:199], v[90:91], v[182:183]
	v_mul_f64_e32 v[86:87], v[86:87], v[60:61]
	;; [unrolled: 1-line block ×3, first 2 shown]
	v_fma_f64 v[184:185], v[80:81], v[44:45], v[184:185]
	v_fma_f64 v[186:187], v[72:73], v[48:49], v[186:187]
	;; [unrolled: 1-line block ×3, first 2 shown]
	v_fma_f64 v[72:73], v[72:73], v[50:51], -v[74:75]
	v_fma_f64 v[54:55], v[68:69], v[54:55], -v[70:71]
	;; [unrolled: 1-line block ×3, first 2 shown]
	v_fma_f64 v[56:57], v[76:77], v[56:57], v[190:191]
	v_fma_f64 v[58:59], v[76:77], v[58:59], -v[78:79]
	v_fma_f64 v[64:65], v[96:97], v[64:65], v[194:195]
	v_fma_f64 v[68:69], v[92:93], v[176:177], v[196:197]
	v_fma_f64 v[66:67], v[96:97], v[66:67], -v[98:99]
	v_fma_f64 v[74:75], v[92:93], v[178:179], -v[94:95]
	v_fma_f64 v[60:61], v[84:85], v[60:61], v[192:193]
	v_fma_f64 v[70:71], v[88:89], v[180:181], v[198:199]
	v_fma_f64 v[62:63], v[84:85], v[62:63], -v[86:87]
	v_fma_f64 v[76:77], v[88:89], v[182:183], -v[90:91]
	ds_load_b128 v[44:47], v227
	ds_load_b128 v[48:51], v227 offset:1008
	global_wb scope:SCOPE_SE
	s_wait_dscnt 0x0
	s_barrier_signal -1
	s_barrier_wait -1
	global_inv scope:SCOPE_SE
	v_add_f64_e32 v[96:97], v[44:45], v[184:185]
	v_add_f64_e32 v[78:79], v[186:187], v[52:53]
	;; [unrolled: 1-line block ×6, first 2 shown]
	v_add_f64_e64 v[98:99], v[80:81], -v[58:59]
	v_add_f64_e32 v[88:89], v[64:65], v[68:69]
	v_add_f64_e64 v[188:189], v[184:185], -v[56:57]
	v_add_f64_e32 v[92:93], v[66:67], v[74:75]
	v_add_f64_e32 v[180:181], v[48:49], v[60:61]
	;; [unrolled: 1-line block ×5, first 2 shown]
	v_add_f64_e64 v[176:177], v[72:73], -v[54:55]
	v_add_f64_e64 v[190:191], v[62:63], -v[76:77]
	;; [unrolled: 1-line block ×17, first 2 shown]
	v_add_f64_e32 v[96:97], v[96:97], v[186:187]
	v_fma_f64 v[78:79], v[78:79], -0.5, v[44:45]
	v_fma_f64 v[84:85], v[84:85], -0.5, v[46:47]
	v_add_f64_e32 v[72:73], v[178:179], v[72:73]
	v_fma_f64 v[44:45], v[82:83], -0.5, v[44:45]
	v_add_f64_e64 v[82:83], v[186:187], -v[52:53]
	v_fma_f64 v[46:47], v[86:87], -0.5, v[46:47]
	v_fma_f64 v[88:89], v[88:89], -0.5, v[48:49]
	v_add_f64_e64 v[86:87], v[66:67], -v[74:75]
	v_fma_f64 v[92:93], v[92:93], -0.5, v[50:51]
	;; [unrolled: 3-line block ×3, first 2 shown]
	v_add_f64_e64 v[94:95], v[184:185], -v[186:187]
	v_add_f64_e32 v[64:65], v[180:181], v[64:65]
	v_add_f64_e32 v[66:67], v[182:183], v[66:67]
	v_add_f64_e64 v[184:185], v[186:187], -v[184:185]
	v_add_f64_e32 v[80:81], v[80:81], v[202:203]
	v_add_f64_e32 v[202:203], v[62:63], v[214:215]
	;; [unrolled: 1-line block ×3, first 2 shown]
	v_fma_f64 v[178:179], v[98:99], s[2:3], v[78:79]
	s_wait_alu 0xfffe
	v_fma_f64 v[78:79], v[98:99], s[10:11], v[78:79]
	v_fma_f64 v[182:183], v[188:189], s[10:11], v[84:85]
	;; [unrolled: 1-line block ×15, first 2 shown]
	s_mov_b32 s2, 0x4755a5e
	s_mov_b32 s3, 0xbfe2cf23
	;; [unrolled: 1-line block ×3, first 2 shown]
	s_wait_alu 0xfffe
	s_mov_b32 s10, s2
	v_add_f64_e32 v[54:55], v[72:73], v[54:55]
	v_add_f64_e32 v[94:95], v[94:95], v[194:195]
	;; [unrolled: 1-line block ×10, first 2 shown]
	v_fma_f64 v[64:65], v[176:177], s[2:3], v[178:179]
	s_wait_alu 0xfffe
	v_fma_f64 v[66:67], v[176:177], s[10:11], v[78:79]
	v_fma_f64 v[74:75], v[82:83], s[10:11], v[182:183]
	;; [unrolled: 1-line block ×15, first 2 shown]
	s_mov_b32 s2, 0x372fe950
	s_mov_b32 s3, 0x3fd3c6ef
	v_add_f64_e32 v[58:59], v[54:55], v[58:59]
	v_add_f64_e32 v[60:61], v[60:61], v[70:71]
	v_add_f64_e32 v[62:63], v[62:63], v[76:77]
	s_wait_alu 0xfffe
	v_fma_f64 v[64:65], v[94:95], s[2:3], v[64:65]
	v_fma_f64 v[68:69], v[94:95], s[2:3], v[66:67]
	;; [unrolled: 1-line block ×16, first 2 shown]
	ds_store_b128 v240, v[56:59]
	ds_store_b128 v240, v[64:67] offset:144
	ds_store_b128 v240, v[72:75] offset:288
	;; [unrolled: 1-line block ×4, first 2 shown]
	ds_store_b128 v239, v[60:63]
	ds_store_b128 v239, v[80:83] offset:144
	ds_store_b128 v239, v[44:47] offset:288
	ds_store_b128 v239, v[48:51] offset:432
	ds_store_b128 v239, v[52:55] offset:576
	global_wb scope:SCOPE_SE
	s_wait_dscnt 0x0
	s_barrier_signal -1
	s_barrier_wait -1
	global_inv scope:SCOPE_SE
	ds_load_b128 v[56:59], v227
	ds_load_b128 v[76:79], v227 offset:1440
	ds_load_b128 v[72:75], v227 offset:2880
	;; [unrolled: 1-line block ×6, first 2 shown]
	s_and_saveexec_b32 s1, s0
	s_cbranch_execz .LBB0_27
; %bb.26:
	ds_load_b128 v[44:47], v227 offset:1008
	ds_load_b128 v[48:51], v227 offset:2448
	;; [unrolled: 1-line block ×7, first 2 shown]
.LBB0_27:
	s_wait_alu 0xfffe
	s_or_b32 exec_lo, exec_lo, s1
	s_wait_dscnt 0x5
	v_mul_f64_e32 v[84:85], v[126:127], v[78:79]
	v_mul_f64_e32 v[86:87], v[126:127], v[76:77]
	s_wait_dscnt 0x4
	v_mul_f64_e32 v[88:89], v[130:131], v[74:75]
	v_mul_f64_e32 v[90:91], v[130:131], v[72:73]
	;; [unrolled: 3-line block ×3, first 2 shown]
	v_mul_f64_e32 v[96:97], v[138:139], v[70:71]
	v_mul_f64_e32 v[98:99], v[138:139], v[68:69]
	;; [unrolled: 1-line block ×6, first 2 shown]
	s_mov_b32 s10, 0x37e14327
	s_mov_b32 s14, 0xe976ee23
	;; [unrolled: 1-line block ×15, first 2 shown]
	s_wait_alu 0xfffe
	s_mov_b32 s20, s16
	s_mov_b32 s24, s22
	;; [unrolled: 1-line block ×4, first 2 shown]
	global_wb scope:SCOPE_SE
	s_barrier_signal -1
	s_barrier_wait -1
	global_inv scope:SCOPE_SE
	v_fma_f64 v[76:77], v[124:125], v[76:77], v[84:85]
	v_fma_f64 v[78:79], v[124:125], v[78:79], -v[86:87]
	v_fma_f64 v[72:73], v[128:129], v[72:73], v[88:89]
	v_fma_f64 v[74:75], v[128:129], v[74:75], -v[90:91]
	v_fma_f64 v[80:81], v[132:133], v[80:81], v[92:93]
	v_fma_f64 v[82:83], v[132:133], v[82:83], -v[94:95]
	v_fma_f64 v[68:69], v[136:137], v[68:69], v[96:97]
	v_fma_f64 v[70:71], v[136:137], v[70:71], -v[98:99]
	v_fma_f64 v[64:65], v[140:141], v[64:65], v[126:127]
	v_fma_f64 v[66:67], v[140:141], v[66:67], -v[130:131]
	v_fma_f64 v[60:61], v[144:145], v[60:61], v[134:135]
	v_fma_f64 v[62:63], v[144:145], v[62:63], -v[138:139]
	v_add_f64_e32 v[84:85], v[76:77], v[80:81]
	v_add_f64_e32 v[86:87], v[78:79], v[82:83]
	;; [unrolled: 1-line block ×4, first 2 shown]
	v_add_f64_e64 v[68:69], v[72:73], -v[68:69]
	v_add_f64_e64 v[70:71], v[74:75], -v[70:71]
	v_add_f64_e32 v[72:73], v[64:65], v[60:61]
	v_add_f64_e32 v[74:75], v[66:67], v[62:63]
	v_add_f64_e64 v[60:61], v[60:61], -v[64:65]
	v_add_f64_e64 v[62:63], v[62:63], -v[66:67]
	;; [unrolled: 1-line block ×4, first 2 shown]
	v_add_f64_e32 v[76:77], v[88:89], v[84:85]
	v_add_f64_e32 v[78:79], v[90:91], v[86:87]
	v_add_f64_e64 v[80:81], v[84:85], -v[72:73]
	v_add_f64_e64 v[82:83], v[86:87], -v[74:75]
	;; [unrolled: 1-line block ×6, first 2 shown]
	v_add_f64_e32 v[68:69], v[60:61], v[68:69]
	v_add_f64_e32 v[70:71], v[62:63], v[70:71]
	v_add_f64_e64 v[60:61], v[64:65], -v[60:61]
	v_add_f64_e64 v[62:63], v[66:67], -v[62:63]
	;; [unrolled: 1-line block ×4, first 2 shown]
	v_add_f64_e32 v[76:77], v[72:73], v[76:77]
	v_add_f64_e32 v[78:79], v[74:75], v[78:79]
	v_add_f64_e64 v[72:73], v[72:73], -v[88:89]
	v_add_f64_e64 v[74:75], v[74:75], -v[90:91]
	v_mul_f64_e32 v[80:81], s[10:11], v[80:81]
	v_mul_f64_e32 v[82:83], s[10:11], v[82:83]
	;; [unrolled: 1-line block ×6, first 2 shown]
	v_add_f64_e32 v[64:65], v[68:69], v[64:65]
	v_add_f64_e32 v[66:67], v[70:71], v[66:67]
	;; [unrolled: 1-line block ×4, first 2 shown]
	v_mul_f64_e32 v[88:89], s[18:19], v[72:73]
	v_mul_f64_e32 v[90:91], s[18:19], v[74:75]
	v_fma_f64 v[68:69], v[72:73], s[18:19], v[80:81]
	v_fma_f64 v[70:71], v[74:75], s[18:19], v[82:83]
	;; [unrolled: 1-line block ×4, first 2 shown]
	v_fma_f64 v[92:93], v[96:97], s[2:3], -v[92:93]
	v_fma_f64 v[94:95], v[98:99], s[2:3], -v[94:95]
	s_wait_alu 0xfffe
	v_fma_f64 v[60:61], v[60:61], s[24:25], -v[124:125]
	v_fma_f64 v[62:63], v[62:63], s[24:25], -v[126:127]
	;; [unrolled: 1-line block ×4, first 2 shown]
	v_fma_f64 v[76:77], v[76:77], s[12:13], v[56:57]
	v_fma_f64 v[78:79], v[78:79], s[12:13], v[58:59]
	v_fma_f64 v[84:85], v[84:85], s[16:17], -v[88:89]
	v_fma_f64 v[86:87], v[86:87], s[16:17], -v[90:91]
	v_fma_f64 v[88:89], v[64:65], s[26:27], v[72:73]
	v_fma_f64 v[90:91], v[66:67], s[26:27], v[74:75]
	;; [unrolled: 1-line block ×6, first 2 shown]
	v_add_f64_e32 v[96:97], v[68:69], v[76:77]
	v_add_f64_e32 v[98:99], v[70:71], v[78:79]
	;; [unrolled: 1-line block ×7, first 2 shown]
	v_add_f64_e64 v[62:63], v[98:99], -v[88:89]
	v_add_f64_e32 v[64:65], v[94:95], v[80:81]
	v_add_f64_e64 v[66:67], v[82:83], -v[92:93]
	v_add_f64_e64 v[68:69], v[76:77], -v[72:73]
	v_add_f64_e32 v[70:71], v[74:75], v[78:79]
	v_add_f64_e32 v[72:73], v[72:73], v[76:77]
	v_add_f64_e64 v[74:75], v[78:79], -v[74:75]
	v_add_f64_e64 v[76:77], v[80:81], -v[94:95]
	v_add_f64_e32 v[78:79], v[92:93], v[82:83]
	v_add_f64_e64 v[80:81], v[96:97], -v[90:91]
	v_add_f64_e32 v[82:83], v[88:89], v[98:99]
	ds_store_b128 v241, v[56:59]
	ds_store_b128 v241, v[60:63] offset:720
	ds_store_b128 v241, v[64:67] offset:1440
	;; [unrolled: 1-line block ×6, first 2 shown]
	s_and_saveexec_b32 s1, s0
	s_cbranch_execz .LBB0_29
; %bb.28:
	v_mul_f64_e32 v[56:57], v[110:111], v[172:173]
	v_mul_f64_e32 v[58:59], v[102:103], v[48:49]
	;; [unrolled: 1-line block ×12, first 2 shown]
	v_fma_f64 v[56:57], v[108:109], v[174:175], -v[56:57]
	v_fma_f64 v[50:51], v[100:101], v[50:51], -v[58:59]
	;; [unrolled: 1-line block ×4, first 2 shown]
	v_fma_f64 v[48:49], v[100:101], v[48:49], v[64:65]
	v_fma_f64 v[60:61], v[108:109], v[172:173], v[66:67]
	;; [unrolled: 1-line block ×6, first 2 shown]
	v_fma_f64 v[38:39], v[116:117], v[38:39], -v[76:77]
	v_fma_f64 v[42:43], v[120:121], v[42:43], -v[78:79]
	v_add_f64_e32 v[64:65], v[50:51], v[56:57]
	v_add_f64_e64 v[50:51], v[50:51], -v[56:57]
	v_add_f64_e32 v[66:67], v[54:55], v[58:59]
	v_add_f64_e32 v[68:69], v[48:49], v[60:61]
	;; [unrolled: 1-line block ×3, first 2 shown]
	v_add_f64_e64 v[52:53], v[52:53], -v[62:63]
	v_add_f64_e64 v[72:73], v[40:41], -v[36:37]
	v_add_f64_e32 v[36:37], v[36:37], v[40:41]
	v_add_f64_e32 v[62:63], v[38:39], v[42:43]
	v_add_f64_e64 v[40:41], v[48:49], -v[60:61]
	v_add_f64_e64 v[38:39], v[42:43], -v[38:39]
	;; [unrolled: 1-line block ×3, first 2 shown]
	v_add_f64_e32 v[48:49], v[66:67], v[64:65]
	v_add_f64_e32 v[54:55], v[70:71], v[68:69]
	v_add_f64_e64 v[56:57], v[72:73], -v[52:53]
	v_add_f64_e64 v[60:61], v[68:69], -v[36:37]
	v_add_f64_e64 v[58:59], v[64:65], -v[62:63]
	v_add_f64_e64 v[74:75], v[52:53], -v[40:41]
	v_add_f64_e64 v[80:81], v[36:37], -v[70:71]
	v_add_f64_e64 v[76:77], v[38:39], -v[42:43]
	v_add_f64_e64 v[78:79], v[42:43], -v[50:51]
	v_add_f64_e64 v[82:83], v[40:41], -v[72:73]
	v_add_f64_e32 v[52:53], v[72:73], v[52:53]
	v_add_f64_e32 v[42:43], v[38:39], v[42:43]
	v_add_f64_e64 v[84:85], v[50:51], -v[38:39]
	v_add_f64_e32 v[48:49], v[62:63], v[48:49]
	v_add_f64_e64 v[62:63], v[62:63], -v[66:67]
	v_add_f64_e32 v[54:55], v[36:37], v[54:55]
	v_mul_f64_e32 v[56:57], s[14:15], v[56:57]
	v_mul_f64_e32 v[60:61], s[10:11], v[60:61]
	;; [unrolled: 1-line block ×4, first 2 shown]
	v_add_f64_e32 v[40:41], v[52:53], v[40:41]
	v_add_f64_e32 v[42:43], v[42:43], v[50:51]
	;; [unrolled: 1-line block ×3, first 2 shown]
	v_add_f64_e64 v[46:47], v[66:67], -v[64:65]
	v_mul_f64_e32 v[64:65], s[18:19], v[62:63]
	v_mul_f64_e32 v[66:67], s[14:15], v[76:77]
	v_add_f64_e32 v[36:37], v[44:45], v[54:55]
	v_add_f64_e64 v[44:45], v[70:71], -v[68:69]
	v_mul_f64_e32 v[68:69], s[18:19], v[80:81]
	v_fma_f64 v[50:51], v[82:83], s[22:23], v[56:57]
	v_fma_f64 v[52:53], v[62:63], s[18:19], v[58:59]
	;; [unrolled: 1-line block ×3, first 2 shown]
	v_fma_f64 v[70:71], v[82:83], s[24:25], -v[72:73]
	v_fma_f64 v[56:57], v[74:75], s[2:3], -v[56:57]
	v_mul_f64_e32 v[76:77], s[2:3], v[78:79]
	v_fma_f64 v[48:49], v[48:49], s[12:13], v[38:39]
	v_fma_f64 v[58:59], v[46:47], s[20:21], -v[58:59]
	v_fma_f64 v[46:47], v[46:47], s[16:17], -v[64:65]
	v_fma_f64 v[64:65], v[84:85], s[22:23], v[66:67]
	v_fma_f64 v[54:55], v[54:55], s[12:13], v[36:37]
	v_fma_f64 v[60:61], v[44:45], s[20:21], -v[60:61]
	v_fma_f64 v[44:45], v[44:45], s[16:17], -v[68:69]
	v_fma_f64 v[68:69], v[40:41], s[26:27], v[50:51]
	v_fma_f64 v[66:67], v[78:79], s[2:3], -v[66:67]
	v_fma_f64 v[70:71], v[40:41], s[26:27], v[70:71]
	v_fma_f64 v[40:41], v[40:41], s[26:27], v[56:57]
	v_fma_f64 v[72:73], v[84:85], s[24:25], -v[76:77]
	v_add_f64_e32 v[52:53], v[52:53], v[48:49]
	v_add_f64_e32 v[56:57], v[58:59], v[48:49]
	v_add_f64_e32 v[48:49], v[46:47], v[48:49]
	v_fma_f64 v[64:65], v[42:43], s[26:27], v[64:65]
	v_add_f64_e32 v[74:75], v[62:63], v[54:55]
	v_add_f64_e32 v[76:77], v[60:61], v[54:55]
	;; [unrolled: 1-line block ×3, first 2 shown]
	v_fma_f64 v[66:67], v[42:43], s[26:27], v[66:67]
	v_fma_f64 v[72:73], v[42:43], s[26:27], v[72:73]
	v_add_f64_e64 v[62:63], v[52:53], -v[68:69]
	v_add_f64_e32 v[46:47], v[70:71], v[56:57]
	v_add_f64_e64 v[50:51], v[48:49], -v[40:41]
	v_add_f64_e32 v[54:55], v[40:41], v[48:49]
	v_add_f64_e32 v[60:61], v[64:65], v[74:75]
	v_add_f64_e64 v[40:41], v[74:75], -v[64:65]
	scratch_load_b32 v64, off, off offset:24 th:TH_LOAD_LU ; 4-byte Folded Reload
	v_add_f64_e64 v[58:59], v[56:57], -v[70:71]
	v_add_f64_e32 v[42:43], v[68:69], v[52:53]
	v_add_f64_e64 v[52:53], v[44:45], -v[66:67]
	v_add_f64_e32 v[48:49], v[66:67], v[44:45]
	v_add_f64_e32 v[56:57], v[72:73], v[76:77]
	v_add_f64_e64 v[44:45], v[76:77], -v[72:73]
	s_wait_loadcnt 0x0
	v_lshlrev_b32_e32 v64, 4, v64
	ds_store_b128 v64, v[36:39] offset:5040
	ds_store_b128 v64, v[60:63] offset:5760
	;; [unrolled: 1-line block ×7, first 2 shown]
.LBB0_29:
	s_wait_alu 0xfffe
	s_or_b32 exec_lo, exec_lo, s1
	global_wb scope:SCOPE_SE
	s_wait_dscnt 0x0
	s_barrier_signal -1
	s_barrier_wait -1
	global_inv scope:SCOPE_SE
	ds_load_b128 v[36:39], v227 offset:5040
	ds_load_b128 v[40:43], v227 offset:6048
	;; [unrolled: 1-line block ×6, first 2 shown]
	s_mov_b32 s2, 0x1a01a01a
	s_mov_b32 s3, 0x3f5a01a0
	s_movk_i32 s10, 0xfe9b
	s_mov_b32 s11, -1
	s_wait_dscnt 0x5
	v_mul_f64_e32 v[60:61], v[150:151], v[38:39]
	v_mul_f64_e32 v[62:63], v[150:151], v[36:37]
	s_wait_dscnt 0x4
	v_mul_f64_e32 v[64:65], v[154:155], v[42:43]
	v_mul_f64_e32 v[66:67], v[154:155], v[40:41]
	;; [unrolled: 3-line block ×5, first 2 shown]
	v_fma_f64 v[60:61], v[148:149], v[36:37], v[60:61]
	v_fma_f64 v[62:63], v[148:149], v[38:39], -v[62:63]
	v_fma_f64 v[64:65], v[152:153], v[40:41], v[64:65]
	v_fma_f64 v[66:67], v[152:153], v[42:43], -v[66:67]
	;; [unrolled: 2-line block ×5, first 2 shown]
	ds_load_b128 v[36:39], v227
	ds_load_b128 v[40:43], v227 offset:1008
	ds_load_b128 v[44:47], v227 offset:2016
	;; [unrolled: 1-line block ×3, first 2 shown]
	s_wait_dscnt 0x3
	v_add_f64_e64 v[52:53], v[36:37], -v[60:61]
	v_add_f64_e64 v[54:55], v[38:39], -v[62:63]
	s_wait_dscnt 0x2
	v_add_f64_e64 v[60:61], v[40:41], -v[64:65]
	v_add_f64_e64 v[62:63], v[42:43], -v[66:67]
	;; [unrolled: 3-line block ×4, first 2 shown]
	v_add_f64_e64 v[72:73], v[56:57], -v[76:77]
	v_add_f64_e64 v[74:75], v[58:59], -v[78:79]
	v_fma_f64 v[36:37], v[36:37], 2.0, -v[52:53]
	v_fma_f64 v[38:39], v[38:39], 2.0, -v[54:55]
	;; [unrolled: 1-line block ×10, first 2 shown]
	ds_store_b128 v227, v[60:63] offset:6048
	ds_store_b128 v227, v[64:67] offset:7056
	;; [unrolled: 1-line block ×4, first 2 shown]
	ds_store_b128 v227, v[36:39]
	ds_store_b128 v227, v[40:43] offset:1008
	ds_store_b128 v227, v[44:47] offset:2016
	;; [unrolled: 1-line block ×5, first 2 shown]
	global_wb scope:SCOPE_SE
	s_wait_dscnt 0x0
	s_barrier_signal -1
	s_barrier_wait -1
	global_inv scope:SCOPE_SE
	ds_load_b128 v[36:39], v227
	ds_load_b128 v[40:43], v227 offset:3360
	ds_load_b128 v[44:47], v227 offset:6720
	;; [unrolled: 1-line block ×8, first 2 shown]
	scratch_load_b64 v[72:73], off, off th:TH_LOAD_LU ; 8-byte Folded Reload
	v_mad_co_u64_u32 v[74:75], null, s4, v228, 0
	s_wait_dscnt 0x8
	v_mul_f64_e32 v[76:77], v[2:3], v[38:39]
	v_mul_f64_e32 v[2:3], v[2:3], v[36:37]
	s_wait_dscnt 0x7
	v_mul_f64_e32 v[78:79], v[22:23], v[42:43]
	v_mul_f64_e32 v[22:23], v[22:23], v[40:41]
	;; [unrolled: 3-line block ×9, first 2 shown]
	v_fma_f64 v[36:37], v[0:1], v[36:37], v[76:77]
	v_fma_f64 v[0:1], v[0:1], v[38:39], -v[2:3]
	v_fma_f64 v[38:39], v[20:21], v[40:41], v[78:79]
	v_fma_f64 v[20:21], v[20:21], v[42:43], -v[22:23]
	;; [unrolled: 2-line block ×9, first 2 shown]
	s_wait_alu 0xfffe
	v_mul_f64_e32 v[6:7], s[2:3], v[38:39]
	v_mul_f64_e32 v[8:9], s[2:3], v[20:21]
	;; [unrolled: 1-line block ×15, first 2 shown]
	s_wait_loadcnt 0x0
	v_mov_b32_e32 v94, v72
	s_delay_alu instid0(VALU_DEP_1) | instskip(NEXT) | instid1(VALU_DEP_1)
	v_mad_co_u64_u32 v[72:73], null, s6, v94, 0
	v_mad_co_u64_u32 v[94:95], null, s7, v94, v[73:74]
	;; [unrolled: 1-line block ×3, first 2 shown]
	s_mul_u64 s[6:7], s[4:5], 0xd2
	s_mul_u64 s[4:5], s[4:5], s[10:11]
	s_wait_alu 0xfffe
	s_lshl_b64 s[6:7], s[6:7], 4
	s_lshl_b64 s[4:5], s[4:5], 4
	s_delay_alu instid0(VALU_DEP_2) | instskip(NEXT) | instid1(VALU_DEP_2)
	v_mov_b32_e32 v73, v94
	v_mov_b32_e32 v75, v95
	s_delay_alu instid0(VALU_DEP_2) | instskip(NEXT) | instid1(VALU_DEP_2)
	v_lshlrev_b64_e32 v[72:73], 4, v[72:73]
	v_lshlrev_b64_e32 v[2:3], 4, v[74:75]
	s_delay_alu instid0(VALU_DEP_2) | instskip(SKIP_1) | instid1(VALU_DEP_3)
	v_add_co_u32 v4, s0, s8, v72
	s_wait_alu 0xf1ff
	v_add_co_ci_u32_e64 v5, s0, s9, v73, s0
	s_delay_alu instid0(VALU_DEP_2) | instskip(SKIP_1) | instid1(VALU_DEP_2)
	v_add_co_u32 v62, s0, v4, v2
	s_wait_alu 0xf1ff
	v_add_co_ci_u32_e64 v63, s0, v5, v3, s0
	v_mul_f64_e32 v[2:3], s[2:3], v[36:37]
	s_wait_alu 0xfffe
	v_add_co_u32 v64, s0, v62, s6
	s_wait_alu 0xf1ff
	v_add_co_ci_u32_e64 v65, s0, s7, v63, s0
	v_mul_f64_e32 v[4:5], s[2:3], v[0:1]
	s_delay_alu instid0(VALU_DEP_3) | instskip(SKIP_1) | instid1(VALU_DEP_3)
	v_add_co_u32 v66, s0, v64, s6
	s_wait_alu 0xf1ff
	v_add_co_ci_u32_e64 v67, s0, s7, v65, s0
	v_mul_f64_e32 v[36:37], s[2:3], v[60:61]
	s_delay_alu instid0(VALU_DEP_3) | instskip(SKIP_1) | instid1(VALU_DEP_3)
	v_add_co_u32 v38, s0, v66, s4
	s_wait_alu 0xf1ff
	v_add_co_ci_u32_e64 v39, s0, s5, v67, s0
	s_delay_alu instid0(VALU_DEP_2) | instskip(SKIP_1) | instid1(VALU_DEP_2)
	v_add_co_u32 v40, s0, v38, s6
	s_wait_alu 0xf1ff
	v_add_co_ci_u32_e64 v41, s0, s7, v39, s0
	s_delay_alu instid0(VALU_DEP_2) | instskip(SKIP_1) | instid1(VALU_DEP_2)
	;; [unrolled: 4-line block ×5, first 2 shown]
	v_add_co_u32 v0, s0, v46, s6
	s_wait_alu 0xf1ff
	v_add_co_ci_u32_e64 v1, s0, s7, v47, s0
	s_clause 0x4
	global_store_b128 v[62:63], v[2:5], off
	global_store_b128 v[64:65], v[6:9], off
	;; [unrolled: 1-line block ×9, first 2 shown]
	s_and_b32 exec_lo, exec_lo, vcc_lo
	s_cbranch_execz .LBB0_31
; %bb.30:
	s_clause 0x2
	global_load_b128 v[2:5], v[254:255], off offset:3024
	global_load_b128 v[6:9], v[254:255], off offset:6384
	global_load_b128 v[10:13], v[254:255], off offset:9744
	ds_load_b128 v[14:17], v227 offset:3024
	ds_load_b128 v[18:21], v227 offset:6384
	;; [unrolled: 1-line block ×3, first 2 shown]
	v_add_co_u32 v0, vcc_lo, v0, s4
	s_wait_alu 0xfffd
	v_add_co_ci_u32_e32 v1, vcc_lo, s5, v1, vcc_lo
	s_wait_loadcnt_dscnt 0x202
	v_mul_f64_e32 v[26:27], v[16:17], v[4:5]
	v_mul_f64_e32 v[4:5], v[14:15], v[4:5]
	s_wait_loadcnt_dscnt 0x101
	v_mul_f64_e32 v[28:29], v[20:21], v[8:9]
	v_mul_f64_e32 v[8:9], v[18:19], v[8:9]
	s_wait_loadcnt_dscnt 0x0
	v_mul_f64_e32 v[30:31], v[24:25], v[12:13]
	v_mul_f64_e32 v[12:13], v[22:23], v[12:13]
	v_fma_f64 v[14:15], v[14:15], v[2:3], v[26:27]
	v_fma_f64 v[4:5], v[2:3], v[16:17], -v[4:5]
	v_fma_f64 v[16:17], v[18:19], v[6:7], v[28:29]
	v_fma_f64 v[8:9], v[6:7], v[20:21], -v[8:9]
	;; [unrolled: 2-line block ×3, first 2 shown]
	v_mul_f64_e32 v[2:3], s[2:3], v[14:15]
	v_mul_f64_e32 v[4:5], s[2:3], v[4:5]
	;; [unrolled: 1-line block ×6, first 2 shown]
	v_add_co_u32 v14, vcc_lo, v0, s6
	s_wait_alu 0xfffd
	v_add_co_ci_u32_e32 v15, vcc_lo, s7, v1, vcc_lo
	s_delay_alu instid0(VALU_DEP_2) | instskip(SKIP_1) | instid1(VALU_DEP_2)
	v_add_co_u32 v16, vcc_lo, v14, s6
	s_wait_alu 0xfffd
	v_add_co_ci_u32_e32 v17, vcc_lo, s7, v15, vcc_lo
	global_store_b128 v[0:1], v[2:5], off
	global_store_b128 v[14:15], v[6:9], off
	;; [unrolled: 1-line block ×3, first 2 shown]
.LBB0_31:
	s_nop 0
	s_sendmsg sendmsg(MSG_DEALLOC_VGPRS)
	s_endpgm
	.section	.rodata,"a",@progbits
	.p2align	6, 0x0
	.amdhsa_kernel bluestein_single_back_len630_dim1_dp_op_CI_CI
		.amdhsa_group_segment_fixed_size 10080
		.amdhsa_private_segment_fixed_size 52
		.amdhsa_kernarg_size 104
		.amdhsa_user_sgpr_count 2
		.amdhsa_user_sgpr_dispatch_ptr 0
		.amdhsa_user_sgpr_queue_ptr 0
		.amdhsa_user_sgpr_kernarg_segment_ptr 1
		.amdhsa_user_sgpr_dispatch_id 0
		.amdhsa_user_sgpr_private_segment_size 0
		.amdhsa_wavefront_size32 1
		.amdhsa_uses_dynamic_stack 0
		.amdhsa_enable_private_segment 1
		.amdhsa_system_sgpr_workgroup_id_x 1
		.amdhsa_system_sgpr_workgroup_id_y 0
		.amdhsa_system_sgpr_workgroup_id_z 0
		.amdhsa_system_sgpr_workgroup_info 0
		.amdhsa_system_vgpr_workitem_id 0
		.amdhsa_next_free_vgpr 256
		.amdhsa_next_free_sgpr 32
		.amdhsa_reserve_vcc 1
		.amdhsa_float_round_mode_32 0
		.amdhsa_float_round_mode_16_64 0
		.amdhsa_float_denorm_mode_32 3
		.amdhsa_float_denorm_mode_16_64 3
		.amdhsa_fp16_overflow 0
		.amdhsa_workgroup_processor_mode 1
		.amdhsa_memory_ordered 1
		.amdhsa_forward_progress 0
		.amdhsa_round_robin_scheduling 0
		.amdhsa_exception_fp_ieee_invalid_op 0
		.amdhsa_exception_fp_denorm_src 0
		.amdhsa_exception_fp_ieee_div_zero 0
		.amdhsa_exception_fp_ieee_overflow 0
		.amdhsa_exception_fp_ieee_underflow 0
		.amdhsa_exception_fp_ieee_inexact 0
		.amdhsa_exception_int_div_zero 0
	.end_amdhsa_kernel
	.text
.Lfunc_end0:
	.size	bluestein_single_back_len630_dim1_dp_op_CI_CI, .Lfunc_end0-bluestein_single_back_len630_dim1_dp_op_CI_CI
                                        ; -- End function
	.section	.AMDGPU.csdata,"",@progbits
; Kernel info:
; codeLenInByte = 15404
; NumSgprs: 34
; NumVgprs: 256
; ScratchSize: 52
; MemoryBound: 0
; FloatMode: 240
; IeeeMode: 1
; LDSByteSize: 10080 bytes/workgroup (compile time only)
; SGPRBlocks: 4
; VGPRBlocks: 31
; NumSGPRsForWavesPerEU: 34
; NumVGPRsForWavesPerEU: 256
; Occupancy: 5
; WaveLimiterHint : 1
; COMPUTE_PGM_RSRC2:SCRATCH_EN: 1
; COMPUTE_PGM_RSRC2:USER_SGPR: 2
; COMPUTE_PGM_RSRC2:TRAP_HANDLER: 0
; COMPUTE_PGM_RSRC2:TGID_X_EN: 1
; COMPUTE_PGM_RSRC2:TGID_Y_EN: 0
; COMPUTE_PGM_RSRC2:TGID_Z_EN: 0
; COMPUTE_PGM_RSRC2:TIDIG_COMP_CNT: 0
	.text
	.p2alignl 7, 3214868480
	.fill 96, 4, 3214868480
	.type	__hip_cuid_a34071cc3751a288,@object ; @__hip_cuid_a34071cc3751a288
	.section	.bss,"aw",@nobits
	.globl	__hip_cuid_a34071cc3751a288
__hip_cuid_a34071cc3751a288:
	.byte	0                               ; 0x0
	.size	__hip_cuid_a34071cc3751a288, 1

	.ident	"AMD clang version 19.0.0git (https://github.com/RadeonOpenCompute/llvm-project roc-6.4.0 25133 c7fe45cf4b819c5991fe208aaa96edf142730f1d)"
	.section	".note.GNU-stack","",@progbits
	.addrsig
	.addrsig_sym __hip_cuid_a34071cc3751a288
	.amdgpu_metadata
---
amdhsa.kernels:
  - .args:
      - .actual_access:  read_only
        .address_space:  global
        .offset:         0
        .size:           8
        .value_kind:     global_buffer
      - .actual_access:  read_only
        .address_space:  global
        .offset:         8
        .size:           8
        .value_kind:     global_buffer
      - .actual_access:  read_only
        .address_space:  global
        .offset:         16
        .size:           8
        .value_kind:     global_buffer
      - .actual_access:  read_only
        .address_space:  global
        .offset:         24
        .size:           8
        .value_kind:     global_buffer
      - .actual_access:  read_only
        .address_space:  global
        .offset:         32
        .size:           8
        .value_kind:     global_buffer
      - .offset:         40
        .size:           8
        .value_kind:     by_value
      - .address_space:  global
        .offset:         48
        .size:           8
        .value_kind:     global_buffer
      - .address_space:  global
        .offset:         56
        .size:           8
        .value_kind:     global_buffer
      - .address_space:  global
        .offset:         64
        .size:           8
        .value_kind:     global_buffer
      - .address_space:  global
        .offset:         72
        .size:           8
        .value_kind:     global_buffer
      - .offset:         80
        .size:           4
        .value_kind:     by_value
      - .address_space:  global
        .offset:         88
        .size:           8
        .value_kind:     global_buffer
      - .address_space:  global
        .offset:         96
        .size:           8
        .value_kind:     global_buffer
    .group_segment_fixed_size: 10080
    .kernarg_segment_align: 8
    .kernarg_segment_size: 104
    .language:       OpenCL C
    .language_version:
      - 2
      - 0
    .max_flat_workgroup_size: 63
    .name:           bluestein_single_back_len630_dim1_dp_op_CI_CI
    .private_segment_fixed_size: 52
    .sgpr_count:     34
    .sgpr_spill_count: 0
    .symbol:         bluestein_single_back_len630_dim1_dp_op_CI_CI.kd
    .uniform_work_group_size: 1
    .uses_dynamic_stack: false
    .vgpr_count:     256
    .vgpr_spill_count: 12
    .wavefront_size: 32
    .workgroup_processor_mode: 1
amdhsa.target:   amdgcn-amd-amdhsa--gfx1201
amdhsa.version:
  - 1
  - 2
...

	.end_amdgpu_metadata
